;; amdgpu-corpus repo=ROCm/composable_kernel kind=compiled arch=gfx90a opt=O3
	.text
	.amdgcn_target "amdgcn-amd-amdhsa--gfx90a"
	.amdhsa_code_object_version 6
	.section	.text._ZN2ckL12flush_icacheEv,"axG",@progbits,_ZN2ckL12flush_icacheEv,comdat
	.globl	_ZN2ckL12flush_icacheEv         ; -- Begin function _ZN2ckL12flush_icacheEv
	.p2align	8
	.type	_ZN2ckL12flush_icacheEv,@function
_ZN2ckL12flush_icacheEv:                ; @_ZN2ckL12flush_icacheEv
; %bb.0:
	;;#ASMSTART
	s_icache_inv 
	s_nop 0 
	s_nop 0 
	;; [unrolled: 1-line block ×16, first 2 shown]
	
	;;#ASMEND
	s_endpgm
	.section	.rodata,"a",@progbits
	.p2align	6, 0x0
	.amdhsa_kernel _ZN2ckL12flush_icacheEv
		.amdhsa_group_segment_fixed_size 0
		.amdhsa_private_segment_fixed_size 0
		.amdhsa_kernarg_size 0
		.amdhsa_user_sgpr_count 4
		.amdhsa_user_sgpr_private_segment_buffer 1
		.amdhsa_user_sgpr_dispatch_ptr 0
		.amdhsa_user_sgpr_queue_ptr 0
		.amdhsa_user_sgpr_kernarg_segment_ptr 0
		.amdhsa_user_sgpr_dispatch_id 0
		.amdhsa_user_sgpr_flat_scratch_init 0
		.amdhsa_user_sgpr_kernarg_preload_length 0
		.amdhsa_user_sgpr_kernarg_preload_offset 0
		.amdhsa_user_sgpr_private_segment_size 0
		.amdhsa_uses_dynamic_stack 0
		.amdhsa_system_sgpr_private_segment_wavefront_offset 0
		.amdhsa_system_sgpr_workgroup_id_x 1
		.amdhsa_system_sgpr_workgroup_id_y 0
		.amdhsa_system_sgpr_workgroup_id_z 0
		.amdhsa_system_sgpr_workgroup_info 0
		.amdhsa_system_vgpr_workitem_id 0
		.amdhsa_next_free_vgpr 1
		.amdhsa_next_free_sgpr 0
		.amdhsa_accum_offset 4
		.amdhsa_reserve_vcc 0
		.amdhsa_reserve_flat_scratch 0
		.amdhsa_float_round_mode_32 0
		.amdhsa_float_round_mode_16_64 0
		.amdhsa_float_denorm_mode_32 3
		.amdhsa_float_denorm_mode_16_64 3
		.amdhsa_dx10_clamp 1
		.amdhsa_ieee_mode 1
		.amdhsa_fp16_overflow 0
		.amdhsa_tg_split 0
		.amdhsa_exception_fp_ieee_invalid_op 0
		.amdhsa_exception_fp_denorm_src 0
		.amdhsa_exception_fp_ieee_div_zero 0
		.amdhsa_exception_fp_ieee_overflow 0
		.amdhsa_exception_fp_ieee_underflow 0
		.amdhsa_exception_fp_ieee_inexact 0
		.amdhsa_exception_int_div_zero 0
	.end_amdhsa_kernel
	.section	.text._ZN2ckL12flush_icacheEv,"axG",@progbits,_ZN2ckL12flush_icacheEv,comdat
.Lfunc_end0:
	.size	_ZN2ckL12flush_icacheEv, .Lfunc_end0-_ZN2ckL12flush_icacheEv
                                        ; -- End function
	.section	.AMDGPU.csdata,"",@progbits
; Kernel info:
; codeLenInByte = 140
; NumSgprs: 4
; NumVgprs: 0
; NumAgprs: 0
; TotalNumVgprs: 0
; ScratchSize: 0
; MemoryBound: 0
; FloatMode: 240
; IeeeMode: 1
; LDSByteSize: 0 bytes/workgroup (compile time only)
; SGPRBlocks: 0
; VGPRBlocks: 0
; NumSGPRsForWavesPerEU: 4
; NumVGPRsForWavesPerEU: 1
; AccumOffset: 4
; Occupancy: 8
; WaveLimiterHint : 0
; COMPUTE_PGM_RSRC2:SCRATCH_EN: 0
; COMPUTE_PGM_RSRC2:USER_SGPR: 4
; COMPUTE_PGM_RSRC2:TRAP_HANDLER: 0
; COMPUTE_PGM_RSRC2:TGID_X_EN: 1
; COMPUTE_PGM_RSRC2:TGID_Y_EN: 0
; COMPUTE_PGM_RSRC2:TGID_Z_EN: 0
; COMPUTE_PGM_RSRC2:TIDIG_COMP_CNT: 0
; COMPUTE_PGM_RSRC3_GFX90A:ACCUM_OFFSET: 0
; COMPUTE_PGM_RSRC3_GFX90A:TG_SPLIT: 0
	.text
	.p2align	2                               ; -- Begin function _ZN2ck35ThreadGroupTensorSliceTransfer_v4r1INS_15ThisThreadBlockILi64EEENS_16tensor_operation12element_wise11PassThroughES5_LNS_25InMemoryDataOperationEnumE0ENS_8SequenceIJLi32ELi32ELi8EEEENS7_IJLi32ELi2ELi1EEEENS7_IJLi1ELi0ELi2EEEEDF16_DF16_RKNS_16TensorDescriptorINS_5TupleIJNS_5EmbedINSC_IJiiEEENSC_IJiNS_17integral_constantIiLi1EEEEEELb0EEENS_7UnMergeISE_Lb0EEENS_11PassThroughIiEEEEENSC_IJNS7_IJLi0EEEENS7_IJLi2EEEENS7_IJLi1EEEEEEENSC_IJNS7_IJLi1ELi2EEEENS7_IJLi3ELi4EEEENS7_IJLi5EEEEEEENS7_IJLi3ELi5ELi4EEEElEEKNSB_INSC_IJNSD_INSC_IJNSF_IiLi32EEES10_NSF_IiLi8EEEEEENSC_IJS11_NSF_IiLi256EEESG_EEELb0EEENS_3XorINSC_IJS10_S10_EEELb1EEENSL_IS11_EENSJ_INSC_IJS10_SG_EEELb0EEENSL_IS10_EES19_S1C_NS_21Merge_v3_division_modIS1A_EES19_EEENSC_IJSO_NS7_IJLi2ELi1EEEENS7_IJLi3EEEESU_NS7_IJLi4EEEENS7_IJLi6EEEENS7_IJLi7EEEENS7_IJLi9ELi8EEEENS7_IJLi10EEEEEEENSC_IJNS7_IJLi1ELi2ELi3EEEENS7_IJLi4ELi5EEEES1J_NS7_IJLi7ELi8EEEENS7_IJLi9EEEES1M_NS7_IJLi11EEEENS7_IJLi12EEEENS7_IJLi13EEEEEEENS7_IJLi11ELi12ELi13EEEENSF_IlLl8192EEEEESA_NS7_IJLi0ELi1ELi2EEEELi2ELi2ELi8ELi8ELi1ELi1ELb0ELb1ELi1EiE8RunWriteINS_13DynamicBufferILNS_16AddressSpaceEnumE2EDF16_S1X_Lb1ELNS_22AmdBufferCoherenceEnumE0EiEELi0EEEvRS1Z_RT_NSF_IiXT0_EEE
	.type	_ZN2ck35ThreadGroupTensorSliceTransfer_v4r1INS_15ThisThreadBlockILi64EEENS_16tensor_operation12element_wise11PassThroughES5_LNS_25InMemoryDataOperationEnumE0ENS_8SequenceIJLi32ELi32ELi8EEEENS7_IJLi32ELi2ELi1EEEENS7_IJLi1ELi0ELi2EEEEDF16_DF16_RKNS_16TensorDescriptorINS_5TupleIJNS_5EmbedINSC_IJiiEEENSC_IJiNS_17integral_constantIiLi1EEEEEELb0EEENS_7UnMergeISE_Lb0EEENS_11PassThroughIiEEEEENSC_IJNS7_IJLi0EEEENS7_IJLi2EEEENS7_IJLi1EEEEEEENSC_IJNS7_IJLi1ELi2EEEENS7_IJLi3ELi4EEEENS7_IJLi5EEEEEEENS7_IJLi3ELi5ELi4EEEElEEKNSB_INSC_IJNSD_INSC_IJNSF_IiLi32EEES10_NSF_IiLi8EEEEEENSC_IJS11_NSF_IiLi256EEESG_EEELb0EEENS_3XorINSC_IJS10_S10_EEELb1EEENSL_IS11_EENSJ_INSC_IJS10_SG_EEELb0EEENSL_IS10_EES19_S1C_NS_21Merge_v3_division_modIS1A_EES19_EEENSC_IJSO_NS7_IJLi2ELi1EEEENS7_IJLi3EEEESU_NS7_IJLi4EEEENS7_IJLi6EEEENS7_IJLi7EEEENS7_IJLi9ELi8EEEENS7_IJLi10EEEEEEENSC_IJNS7_IJLi1ELi2ELi3EEEENS7_IJLi4ELi5EEEES1J_NS7_IJLi7ELi8EEEENS7_IJLi9EEEES1M_NS7_IJLi11EEEENS7_IJLi12EEEENS7_IJLi13EEEEEEENS7_IJLi11ELi12ELi13EEEENSF_IlLl8192EEEEESA_NS7_IJLi0ELi1ELi2EEEELi2ELi2ELi8ELi8ELi1ELi1ELb0ELb1ELi1EiE8RunWriteINS_13DynamicBufferILNS_16AddressSpaceEnumE2EDF16_S1X_Lb1ELNS_22AmdBufferCoherenceEnumE0EiEELi0EEEvRS1Z_RT_NSF_IiXT0_EEE,@function
_ZN2ck35ThreadGroupTensorSliceTransfer_v4r1INS_15ThisThreadBlockILi64EEENS_16tensor_operation12element_wise11PassThroughES5_LNS_25InMemoryDataOperationEnumE0ENS_8SequenceIJLi32ELi32ELi8EEEENS7_IJLi32ELi2ELi1EEEENS7_IJLi1ELi0ELi2EEEEDF16_DF16_RKNS_16TensorDescriptorINS_5TupleIJNS_5EmbedINSC_IJiiEEENSC_IJiNS_17integral_constantIiLi1EEEEEELb0EEENS_7UnMergeISE_Lb0EEENS_11PassThroughIiEEEEENSC_IJNS7_IJLi0EEEENS7_IJLi2EEEENS7_IJLi1EEEEEEENSC_IJNS7_IJLi1ELi2EEEENS7_IJLi3ELi4EEEENS7_IJLi5EEEEEEENS7_IJLi3ELi5ELi4EEEElEEKNSB_INSC_IJNSD_INSC_IJNSF_IiLi32EEES10_NSF_IiLi8EEEEEENSC_IJS11_NSF_IiLi256EEESG_EEELb0EEENS_3XorINSC_IJS10_S10_EEELb1EEENSL_IS11_EENSJ_INSC_IJS10_SG_EEELb0EEENSL_IS10_EES19_S1C_NS_21Merge_v3_division_modIS1A_EES19_EEENSC_IJSO_NS7_IJLi2ELi1EEEENS7_IJLi3EEEESU_NS7_IJLi4EEEENS7_IJLi6EEEENS7_IJLi7EEEENS7_IJLi9ELi8EEEENS7_IJLi10EEEEEEENSC_IJNS7_IJLi1ELi2ELi3EEEENS7_IJLi4ELi5EEEES1J_NS7_IJLi7ELi8EEEENS7_IJLi9EEEES1M_NS7_IJLi11EEEENS7_IJLi12EEEENS7_IJLi13EEEEEEENS7_IJLi11ELi12ELi13EEEENSF_IlLl8192EEEEESA_NS7_IJLi0ELi1ELi2EEEELi2ELi2ELi8ELi8ELi1ELi1ELb0ELb1ELi1EiE8RunWriteINS_13DynamicBufferILNS_16AddressSpaceEnumE2EDF16_S1X_Lb1ELNS_22AmdBufferCoherenceEnumE0EiEELi0EEEvRS1Z_RT_NSF_IiXT0_EEE: ; @_ZN2ck35ThreadGroupTensorSliceTransfer_v4r1INS_15ThisThreadBlockILi64EEENS_16tensor_operation12element_wise11PassThroughES5_LNS_25InMemoryDataOperationEnumE0ENS_8SequenceIJLi32ELi32ELi8EEEENS7_IJLi32ELi2ELi1EEEENS7_IJLi1ELi0ELi2EEEEDF16_DF16_RKNS_16TensorDescriptorINS_5TupleIJNS_5EmbedINSC_IJiiEEENSC_IJiNS_17integral_constantIiLi1EEEEEELb0EEENS_7UnMergeISE_Lb0EEENS_11PassThroughIiEEEEENSC_IJNS7_IJLi0EEEENS7_IJLi2EEEENS7_IJLi1EEEEEEENSC_IJNS7_IJLi1ELi2EEEENS7_IJLi3ELi4EEEENS7_IJLi5EEEEEEENS7_IJLi3ELi5ELi4EEEElEEKNSB_INSC_IJNSD_INSC_IJNSF_IiLi32EEES10_NSF_IiLi8EEEEEENSC_IJS11_NSF_IiLi256EEESG_EEELb0EEENS_3XorINSC_IJS10_S10_EEELb1EEENSL_IS11_EENSJ_INSC_IJS10_SG_EEELb0EEENSL_IS10_EES19_S1C_NS_21Merge_v3_division_modIS1A_EES19_EEENSC_IJSO_NS7_IJLi2ELi1EEEENS7_IJLi3EEEESU_NS7_IJLi4EEEENS7_IJLi6EEEENS7_IJLi7EEEENS7_IJLi9ELi8EEEENS7_IJLi10EEEEEEENSC_IJNS7_IJLi1ELi2ELi3EEEENS7_IJLi4ELi5EEEES1J_NS7_IJLi7ELi8EEEENS7_IJLi9EEEES1M_NS7_IJLi11EEEENS7_IJLi12EEEENS7_IJLi13EEEEEEENS7_IJLi11ELi12ELi13EEEENSF_IlLl8192EEEEESA_NS7_IJLi0ELi1ELi2EEEELi2ELi2ELi8ELi8ELi1ELi1ELb0ELb1ELi1EiE8RunWriteINS_13DynamicBufferILNS_16AddressSpaceEnumE2EDF16_S1X_Lb1ELNS_22AmdBufferCoherenceEnumE0EiEELi0EEEvRS1Z_RT_NSF_IiXT0_EEE
; %bb.0:
	s_waitcnt vmcnt(0) expcnt(0) lgkmcnt(0)
	flat_load_ubyte v52, v[0:1] offset:272
	flat_load_ubyte v53, v[0:1] offset:280
	flat_load_dwordx4 v[16:19], v[0:1]
	flat_load_dwordx4 v[8:11], v[0:1] offset:16
	flat_load_ubyte v80, v[0:1] offset:288
	flat_load_ubyte v81, v[0:1] offset:296
	;; [unrolled: 1-line block ×4, first 2 shown]
	flat_load_dwordx4 v[20:23], v[0:1] offset:32
	flat_load_dwordx4 v[24:27], v[0:1] offset:48
	;; [unrolled: 1-line block ×4, first 2 shown]
	flat_load_ubyte v84, v[0:1] offset:320
	flat_load_ubyte v85, v[0:1] offset:328
	flat_load_dwordx4 v[36:39], v[0:1] offset:96
	flat_load_dwordx4 v[48:51], v[0:1] offset:112
	flat_load_ubyte v86, v[0:1] offset:336
	flat_load_dwordx4 v[4:7], v[0:1] offset:128
	flat_load_dwordx4 v[12:15], v[0:1] offset:144
	flat_load_ubyte v87, v[0:1] offset:344
	flat_load_ubyte v96, v[0:1] offset:352
	flat_load_dwordx4 v[68:71], v[0:1] offset:160
	s_waitcnt vmcnt(0) lgkmcnt(0)
	v_and_b32_e32 v52, 1, v52
	v_and_b32_e32 v64, 1, v53
	v_cmp_eq_u32_e32 vcc, 1, v52
	v_cndmask_b32_e32 v55, 0, v19, vcc
	v_cndmask_b32_e32 v54, 0, v18, vcc
	;; [unrolled: 1-line block ×4, first 2 shown]
	v_cmp_eq_u32_e32 vcc, 1, v64
	v_cndmask_b32_e32 v64, 0, v8, vcc
	v_and_b32_e32 v8, 1, v80
	v_cndmask_b32_e32 v67, 0, v11, vcc
	v_cndmask_b32_e32 v66, 0, v10, vcc
	;; [unrolled: 1-line block ×3, first 2 shown]
	v_and_b32_e32 v9, 1, v81
	v_cmp_eq_u32_e32 vcc, 1, v8
	v_and_b32_e32 v10, 1, v82
	v_and_b32_e32 v16, 1, v83
	v_cndmask_b32_e32 v83, 0, v23, vcc
	v_cndmask_b32_e32 v82, 0, v22, vcc
	;; [unrolled: 1-line block ×4, first 2 shown]
	v_cmp_eq_u32_e32 vcc, 1, v9
	v_cndmask_b32_e32 v27, 0, v27, vcc
	v_cndmask_b32_e32 v26, 0, v26, vcc
	;; [unrolled: 1-line block ×4, first 2 shown]
	v_cmp_eq_u32_e32 vcc, 1, v10
	v_cndmask_b32_e32 v11, 0, v31, vcc
	v_cndmask_b32_e32 v10, 0, v30, vcc
	;; [unrolled: 1-line block ×4, first 2 shown]
	flat_load_dwordx4 v[28:31], v[0:1] offset:176
	v_cmp_eq_u32_e32 vcc, 1, v16
	v_and_b32_e32 v20, 1, v84
	v_cndmask_b32_e32 v19, 0, v35, vcc
	v_cndmask_b32_e32 v18, 0, v34, vcc
	;; [unrolled: 1-line block ×4, first 2 shown]
	v_and_b32_e32 v32, 1, v85
	v_cmp_eq_u32_e32 vcc, 1, v20
	flat_load_ubyte v84, v[0:1] offset:360
	flat_load_ubyte v85, v[0:1] offset:368
	;; [unrolled: 1-line block ×5, first 2 shown]
	s_nop 0
	flat_store_dwordx4 v[0:1], v[52:55]
	flat_store_dwordx4 v[0:1], v[64:67] offset:16
	flat_store_dwordx4 v[0:1], v[80:83] offset:32
	;; [unrolled: 1-line block ×3, first 2 shown]
	v_cndmask_b32_e32 v23, 0, v39, vcc
	v_cndmask_b32_e32 v22, 0, v38, vcc
	;; [unrolled: 1-line block ×4, first 2 shown]
	v_cmp_eq_u32_e32 vcc, 1, v32
	v_and_b32_e32 v36, 1, v86
	flat_load_dwordx4 v[24:27], v[0:1] offset:192
	v_cndmask_b32_e32 v35, 0, v51, vcc
	v_cndmask_b32_e32 v34, 0, v50, vcc
	;; [unrolled: 1-line block ×4, first 2 shown]
	v_cmp_eq_u32_e32 vcc, 1, v36
	flat_load_dwordx4 v[36:39], v[0:1] offset:208
	v_and_b32_e32 v48, 1, v87
	v_cndmask_b32_e32 v7, 0, v7, vcc
	v_cndmask_b32_e32 v6, 0, v6, vcc
	;; [unrolled: 1-line block ×4, first 2 shown]
	v_cmp_eq_u32_e32 vcc, 1, v48
	flat_load_dwordx4 v[48:51], v[0:1] offset:224
	flat_load_dwordx4 v[64:67], v[0:1] offset:240
	v_and_b32_e32 v52, 1, v96
	v_cndmask_b32_e32 v15, 0, v15, vcc
	v_cndmask_b32_e32 v14, 0, v14, vcc
	;; [unrolled: 1-line block ×4, first 2 shown]
	v_cmp_eq_u32_e32 vcc, 1, v52
	v_cndmask_b32_e32 v52, 0, v68, vcc
	v_cndmask_b32_e32 v55, 0, v71, vcc
	;; [unrolled: 1-line block ×4, first 2 shown]
	s_waitcnt vmcnt(0) lgkmcnt(0)
	v_and_b32_e32 v68, 1, v84
	v_cmp_eq_u32_e32 vcc, 1, v68
	v_and_b32_e32 v68, 1, v85
	v_cndmask_b32_e32 v31, 0, v31, vcc
	v_cndmask_b32_e32 v30, 0, v30, vcc
	v_cndmask_b32_e32 v29, 0, v29, vcc
	v_cndmask_b32_e32 v28, 0, v28, vcc
	v_cmp_eq_u32_e32 vcc, 1, v68
	v_and_b32_e32 v68, 1, v97
	v_cndmask_b32_e32 v27, 0, v27, vcc
	v_cndmask_b32_e32 v26, 0, v26, vcc
	v_cndmask_b32_e32 v25, 0, v25, vcc
	v_cndmask_b32_e32 v24, 0, v24, vcc
	;; [unrolled: 6-line block ×4, first 2 shown]
	v_cmp_eq_u32_e32 vcc, 1, v68
	flat_load_dwordx4 v[68:71], v[0:1]
	flat_load_dwordx4 v[80:83], v[0:1] offset:16
	v_cndmask_b32_e32 v67, 0, v67, vcc
	v_cndmask_b32_e32 v66, 0, v66, vcc
	;; [unrolled: 1-line block ×4, first 2 shown]
	flat_store_dwordx4 v[0:1], v[8:11] offset:64
	flat_store_dwordx4 v[0:1], v[16:19] offset:80
	;; [unrolled: 1-line block ×12, first 2 shown]
	flat_load_dwordx4 v[4:7], v[0:1] offset:32
	flat_load_dwordx4 v[8:11], v[0:1] offset:48
	;; [unrolled: 1-line block ×12, first 2 shown]
	s_waitcnt vmcnt(0) lgkmcnt(0)
	flat_store_dwordx4 v[0:1], v[68:71] offset:416
	flat_store_dwordx4 v[0:1], v[80:83] offset:432
	flat_load_dwordx4 v[68:71], v[0:1] offset:224
	s_nop 0
	flat_load_dwordx4 v[80:83], v[0:1] offset:240
	s_nop 0
	flat_store_dwordx4 v[0:1], v[4:7] offset:448
	flat_store_dwordx4 v[0:1], v[8:11] offset:464
	;; [unrolled: 1-line block ×12, first 2 shown]
	flat_load_dword v8, v[0:1] offset:712
	s_waitcnt vmcnt(0) lgkmcnt(0)
	flat_store_dwordx4 v[0:1], v[68:71] offset:640
	flat_store_dwordx4 v[0:1], v[80:83] offset:656
	flat_load_dwordx2 v[10:11], v[2:3]
	flat_load_dwordx4 v[4:7], v[0:1] offset:416
	v_ashrrev_i32_e32 v9, 31, v8
	v_lshlrev_b64 v[8:9], 1, v[8:9]
	s_waitcnt vmcnt(0) lgkmcnt(0)
	v_add_co_u32_e32 v8, vcc, v10, v8
	v_addc_co_u32_e32 v9, vcc, v11, v9, vcc
	flat_store_dwordx4 v[8:9], v[4:7]
	flat_load_dword v5, v[0:1] offset:760
	s_nop 0
	flat_load_dwordx2 v[14:15], v[0:1] offset:744
	flat_load_dwordx2 v[16:17], v[0:1] offset:728
	flat_load_dwordx3 v[10:12], v[0:1] offset:712
	v_mov_b32_e32 v4, 0
	flat_load_dwordx4 v[6:9], v[0:1] offset:432
	s_waitcnt vmcnt(0) lgkmcnt(0)
	v_add_u32_e32 v5, 1, v5
	v_sub_u32_e32 v13, v5, v15
	v_add_u32_e32 v16, v16, v13
	flat_store_dword v[0:1], v5 offset:760
	flat_store_dwordx2 v[0:1], v[4:5] offset:744
	v_ashrrev_i32_e32 v5, 31, v16
	v_lshrrev_b32_e32 v5, 27, v5
	v_add_u32_e32 v5, v16, v5
	v_and_b32_e32 v5, 0xffffffe0, v5
	v_sub_u32_e32 v17, v17, v14
	v_sub_u32_e32 v5, v16, v5
	v_xor_b32_e32 v13, v17, v5
	v_sub_u32_e32 v12, v16, v12
	v_sub_u32_e32 v5, v13, v11
	v_lshlrev_b32_e32 v12, 8, v12
	v_lshlrev_b32_e32 v5, 3, v5
	v_mov_b32_e32 v14, v16
	v_add3_u32 v12, v12, v5, v10
	flat_store_dwordx2 v[0:1], v[16:17] offset:728
	flat_store_dwordx3 v[0:1], v[12:14] offset:712
	flat_load_dwordx2 v[10:11], v[2:3]
	v_ashrrev_i32_e32 v13, 31, v12
	v_lshlrev_b64 v[12:13], 1, v[12:13]
	s_waitcnt vmcnt(0) lgkmcnt(0)
	v_add_co_u32_e32 v10, vcc, v10, v12
	v_addc_co_u32_e32 v11, vcc, v11, v13, vcc
	flat_store_dwordx4 v[10:11], v[6:9]
	flat_load_dword v5, v[0:1] offset:760
	flat_load_dwordx2 v[14:15], v[0:1] offset:744
	flat_load_dwordx2 v[16:17], v[0:1] offset:728
	s_nop 0
	flat_load_dwordx3 v[10:12], v[0:1] offset:712
	flat_load_dwordx4 v[6:9], v[0:1] offset:448
	s_waitcnt vmcnt(0) lgkmcnt(0)
	v_add_u32_e32 v5, 1, v5
	v_sub_u32_e32 v13, v5, v15
	v_add_u32_e32 v16, v16, v13
	flat_store_dword v[0:1], v5 offset:760
	flat_store_dwordx2 v[0:1], v[4:5] offset:744
	v_ashrrev_i32_e32 v5, 31, v16
	v_lshrrev_b32_e32 v5, 27, v5
	v_add_u32_e32 v5, v16, v5
	v_and_b32_e32 v5, 0xffffffe0, v5
	v_sub_u32_e32 v17, v17, v14
	v_sub_u32_e32 v5, v16, v5
	v_xor_b32_e32 v13, v17, v5
	v_sub_u32_e32 v12, v16, v12
	v_sub_u32_e32 v5, v13, v11
	v_lshlrev_b32_e32 v12, 8, v12
	v_lshlrev_b32_e32 v5, 3, v5
	v_mov_b32_e32 v14, v16
	v_add3_u32 v12, v12, v5, v10
	flat_store_dwordx2 v[0:1], v[16:17] offset:728
	flat_store_dwordx3 v[0:1], v[12:14] offset:712
	flat_load_dwordx2 v[10:11], v[2:3]
	v_ashrrev_i32_e32 v13, 31, v12
	v_lshlrev_b64 v[12:13], 1, v[12:13]
	s_waitcnt vmcnt(0) lgkmcnt(0)
	v_add_co_u32_e32 v10, vcc, v10, v12
	v_addc_co_u32_e32 v11, vcc, v11, v13, vcc
	flat_store_dwordx4 v[10:11], v[6:9]
	flat_load_dword v5, v[0:1] offset:760
	flat_load_dwordx2 v[14:15], v[0:1] offset:744
	flat_load_dwordx2 v[16:17], v[0:1] offset:728
	s_nop 0
	flat_load_dwordx3 v[10:12], v[0:1] offset:712
	;; [unrolled: 34-line block ×14, first 2 shown]
	flat_load_dwordx4 v[6:9], v[0:1] offset:656
	s_waitcnt vmcnt(0) lgkmcnt(0)
	v_add_u32_e32 v5, 1, v5
	v_sub_u32_e32 v13, v5, v15
	v_add_u32_e32 v16, v16, v13
	flat_store_dword v[0:1], v5 offset:760
	flat_store_dwordx2 v[0:1], v[4:5] offset:744
	v_ashrrev_i32_e32 v5, 31, v16
	v_lshrrev_b32_e32 v5, 27, v5
	v_add_u32_e32 v5, v16, v5
	v_and_b32_e32 v5, 0xffffffe0, v5
	v_sub_u32_e32 v17, v17, v14
	v_sub_u32_e32 v5, v16, v5
	v_xor_b32_e32 v13, v17, v5
	v_sub_u32_e32 v12, v16, v12
	v_sub_u32_e32 v5, v13, v11
	v_lshlrev_b32_e32 v12, 8, v12
	v_lshlrev_b32_e32 v5, 3, v5
	v_mov_b32_e32 v14, v16
	v_add3_u32 v12, v12, v5, v10
	flat_store_dwordx2 v[0:1], v[16:17] offset:728
	flat_store_dwordx3 v[0:1], v[12:14] offset:712
	flat_load_dwordx2 v[2:3], v[2:3]
	v_ashrrev_i32_e32 v13, 31, v12
	v_lshlrev_b64 v[10:11], 1, v[12:13]
	s_waitcnt vmcnt(0) lgkmcnt(0)
	v_add_co_u32_e32 v2, vcc, v2, v10
	v_addc_co_u32_e32 v3, vcc, v3, v11, vcc
	flat_store_dwordx4 v[2:3], v[6:9]
	flat_load_dword v5, v[0:1] offset:760
	s_nop 0
	flat_load_dwordx2 v[2:3], v[0:1] offset:744
	flat_load_dwordx2 v[10:11], v[0:1] offset:728
	flat_load_dwordx3 v[6:8], v[0:1] offset:712
	s_waitcnt vmcnt(0) lgkmcnt(0)
	v_add_u32_e32 v5, -15, v5
	flat_store_dwordx2 v[0:1], v[4:5] offset:744
	v_sub_u32_e32 v11, v11, v2
	v_sub_u32_e32 v2, v5, v3
	v_add_u32_e32 v10, v10, v2
	v_ashrrev_i32_e32 v2, 31, v10
	v_lshrrev_b32_e32 v2, 27, v2
	v_add_u32_e32 v2, v10, v2
	v_and_b32_e32 v2, 0xffffffe0, v2
	v_sub_u32_e32 v3, v10, v8
	v_sub_u32_e32 v2, v10, v2
	v_lshlrev_b32_e32 v4, 8, v3
	v_xor_b32_e32 v3, v11, v2
	v_sub_u32_e32 v2, v3, v7
	v_lshlrev_b32_e32 v2, 3, v2
	v_add3_u32 v2, v4, v2, v6
	v_mov_b32_e32 v4, v10
	flat_store_dword v[0:1], v5 offset:760
	flat_store_dwordx2 v[0:1], v[10:11] offset:728
	flat_store_dwordx3 v[0:1], v[2:4] offset:712
	s_waitcnt vmcnt(0) lgkmcnt(0)
	s_setpc_b64 s[30:31]
.Lfunc_end1:
	.size	_ZN2ck35ThreadGroupTensorSliceTransfer_v4r1INS_15ThisThreadBlockILi64EEENS_16tensor_operation12element_wise11PassThroughES5_LNS_25InMemoryDataOperationEnumE0ENS_8SequenceIJLi32ELi32ELi8EEEENS7_IJLi32ELi2ELi1EEEENS7_IJLi1ELi0ELi2EEEEDF16_DF16_RKNS_16TensorDescriptorINS_5TupleIJNS_5EmbedINSC_IJiiEEENSC_IJiNS_17integral_constantIiLi1EEEEEELb0EEENS_7UnMergeISE_Lb0EEENS_11PassThroughIiEEEEENSC_IJNS7_IJLi0EEEENS7_IJLi2EEEENS7_IJLi1EEEEEEENSC_IJNS7_IJLi1ELi2EEEENS7_IJLi3ELi4EEEENS7_IJLi5EEEEEEENS7_IJLi3ELi5ELi4EEEElEEKNSB_INSC_IJNSD_INSC_IJNSF_IiLi32EEES10_NSF_IiLi8EEEEEENSC_IJS11_NSF_IiLi256EEESG_EEELb0EEENS_3XorINSC_IJS10_S10_EEELb1EEENSL_IS11_EENSJ_INSC_IJS10_SG_EEELb0EEENSL_IS10_EES19_S1C_NS_21Merge_v3_division_modIS1A_EES19_EEENSC_IJSO_NS7_IJLi2ELi1EEEENS7_IJLi3EEEESU_NS7_IJLi4EEEENS7_IJLi6EEEENS7_IJLi7EEEENS7_IJLi9ELi8EEEENS7_IJLi10EEEEEEENSC_IJNS7_IJLi1ELi2ELi3EEEENS7_IJLi4ELi5EEEES1J_NS7_IJLi7ELi8EEEENS7_IJLi9EEEES1M_NS7_IJLi11EEEENS7_IJLi12EEEENS7_IJLi13EEEEEEENS7_IJLi11ELi12ELi13EEEENSF_IlLl8192EEEEESA_NS7_IJLi0ELi1ELi2EEEELi2ELi2ELi8ELi8ELi1ELi1ELb0ELb1ELi1EiE8RunWriteINS_13DynamicBufferILNS_16AddressSpaceEnumE2EDF16_S1X_Lb1ELNS_22AmdBufferCoherenceEnumE0EiEELi0EEEvRS1Z_RT_NSF_IiXT0_EEE, .Lfunc_end1-_ZN2ck35ThreadGroupTensorSliceTransfer_v4r1INS_15ThisThreadBlockILi64EEENS_16tensor_operation12element_wise11PassThroughES5_LNS_25InMemoryDataOperationEnumE0ENS_8SequenceIJLi32ELi32ELi8EEEENS7_IJLi32ELi2ELi1EEEENS7_IJLi1ELi0ELi2EEEEDF16_DF16_RKNS_16TensorDescriptorINS_5TupleIJNS_5EmbedINSC_IJiiEEENSC_IJiNS_17integral_constantIiLi1EEEEEELb0EEENS_7UnMergeISE_Lb0EEENS_11PassThroughIiEEEEENSC_IJNS7_IJLi0EEEENS7_IJLi2EEEENS7_IJLi1EEEEEEENSC_IJNS7_IJLi1ELi2EEEENS7_IJLi3ELi4EEEENS7_IJLi5EEEEEEENS7_IJLi3ELi5ELi4EEEElEEKNSB_INSC_IJNSD_INSC_IJNSF_IiLi32EEES10_NSF_IiLi8EEEEEENSC_IJS11_NSF_IiLi256EEESG_EEELb0EEENS_3XorINSC_IJS10_S10_EEELb1EEENSL_IS11_EENSJ_INSC_IJS10_SG_EEELb0EEENSL_IS10_EES19_S1C_NS_21Merge_v3_division_modIS1A_EES19_EEENSC_IJSO_NS7_IJLi2ELi1EEEENS7_IJLi3EEEESU_NS7_IJLi4EEEENS7_IJLi6EEEENS7_IJLi7EEEENS7_IJLi9ELi8EEEENS7_IJLi10EEEEEEENSC_IJNS7_IJLi1ELi2ELi3EEEENS7_IJLi4ELi5EEEES1J_NS7_IJLi7ELi8EEEENS7_IJLi9EEEES1M_NS7_IJLi11EEEENS7_IJLi12EEEENS7_IJLi13EEEEEEENS7_IJLi11ELi12ELi13EEEENSF_IlLl8192EEEEESA_NS7_IJLi0ELi1ELi2EEEELi2ELi2ELi8ELi8ELi1ELi1ELb0ELb1ELi1EiE8RunWriteINS_13DynamicBufferILNS_16AddressSpaceEnumE2EDF16_S1X_Lb1ELNS_22AmdBufferCoherenceEnumE0EiEELi0EEEvRS1Z_RT_NSF_IiXT0_EEE
                                        ; -- End function
	.section	.AMDGPU.csdata,"",@progbits
; Function info:
; codeLenInByte = 4148
; NumSgprs: 36
; NumVgprs: 100
; NumAgprs: 0
; TotalNumVgprs: 100
; ScratchSize: 0
; MemoryBound: 0
	.text
	.p2align	2                               ; -- Begin function _ZNK2ck32ThreadwiseTensorSliceTransfer_v4INS_9f8_fnuz_tEDF16_KNS_16TensorDescriptorINS_5TupleIJNS_5EmbedINS3_IJNS_17integral_constantIiLi16EEENS5_IiLi32EEES6_EEENS3_IJS6_NS5_IiLi256EEENS5_IiLi1EEEEEELb0EEENS_3XorINS3_IJS7_S6_EEELb1EEENS_11PassThroughIS6_EENS_7UnMergeINS3_IJS6_SA_EEELb0EEENSG_IS7_EESH_SH_NS_21Merge_v3_division_modINS3_IJS7_SA_EEEEESH_NSM_INS3_IJS6_S6_EEEEENSI_INS3_IJNS5_IiLi2EEESA_S6_EEELb0EEEEEENS3_IJNS_8SequenceIJLi0EEEENSV_IJLi2ELi1EEEENSV_IJLi3EEEENSV_IJLi5EEEENSV_IJLi4EEEENSV_IJLi6EEEENSV_IJLi7EEEENSV_IJLi9ELi8EEEENSV_IJLi10EEEENSV_IJLi11ELi13EEEENSV_IJLi12EEEEEEENS3_IJNSV_IJLi1ELi2ELi3EEEENSV_IJLi4ELi5EEEES11_NSV_IJLi7ELi8EEEENSV_IJLi9EEEES14_NSV_IJLi11EEEES16_NSV_IJLi13EEEENSV_IJLi14EEEENSV_IJLi15ELi16ELi17EEEEEEENSV_IJLi15ELi16ELi17ELi14EEEENS5_IlLl8192EEEEEKNS2_INS3_IJNS4_INS3_IJSR_SA_SA_NS5_IiLi64EEEEEENS3_IJS1L_NS5_IiLi128EEES1N_SA_EEELb0EEEEEENS3_IJSW_EEENS3_IJNSV_IJLi1ELi2ELi3ELi4EEEEEEES1S_NS5_IlLl128EEEEENSV_IJLi1ELi1ELi1ELi64EEEENSV_IJLi0ELi1ELi2ELi3EEEELi3ELi16ELi16ELb0EE3RunINS3_IJNS5_IiLi0EEES21_S21_S21_EEES22_NS_13DynamicBufferILNS_16AddressSpaceEnumE2ES1_S1I_Lb1ELNS_22AmdBufferCoherenceEnumE0EiEENS_12StaticBufferILS24_4EDF16_Li128ELb1EEEEEvRS1K_RKT_RKT1_RS1W_RKT0_RT2_
	.type	_ZNK2ck32ThreadwiseTensorSliceTransfer_v4INS_9f8_fnuz_tEDF16_KNS_16TensorDescriptorINS_5TupleIJNS_5EmbedINS3_IJNS_17integral_constantIiLi16EEENS5_IiLi32EEES6_EEENS3_IJS6_NS5_IiLi256EEENS5_IiLi1EEEEEELb0EEENS_3XorINS3_IJS7_S6_EEELb1EEENS_11PassThroughIS6_EENS_7UnMergeINS3_IJS6_SA_EEELb0EEENSG_IS7_EESH_SH_NS_21Merge_v3_division_modINS3_IJS7_SA_EEEEESH_NSM_INS3_IJS6_S6_EEEEENSI_INS3_IJNS5_IiLi2EEESA_S6_EEELb0EEEEEENS3_IJNS_8SequenceIJLi0EEEENSV_IJLi2ELi1EEEENSV_IJLi3EEEENSV_IJLi5EEEENSV_IJLi4EEEENSV_IJLi6EEEENSV_IJLi7EEEENSV_IJLi9ELi8EEEENSV_IJLi10EEEENSV_IJLi11ELi13EEEENSV_IJLi12EEEEEEENS3_IJNSV_IJLi1ELi2ELi3EEEENSV_IJLi4ELi5EEEES11_NSV_IJLi7ELi8EEEENSV_IJLi9EEEES14_NSV_IJLi11EEEES16_NSV_IJLi13EEEENSV_IJLi14EEEENSV_IJLi15ELi16ELi17EEEEEEENSV_IJLi15ELi16ELi17ELi14EEEENS5_IlLl8192EEEEEKNS2_INS3_IJNS4_INS3_IJSR_SA_SA_NS5_IiLi64EEEEEENS3_IJS1L_NS5_IiLi128EEES1N_SA_EEELb0EEEEEENS3_IJSW_EEENS3_IJNSV_IJLi1ELi2ELi3ELi4EEEEEEES1S_NS5_IlLl128EEEEENSV_IJLi1ELi1ELi1ELi64EEEENSV_IJLi0ELi1ELi2ELi3EEEELi3ELi16ELi16ELb0EE3RunINS3_IJNS5_IiLi0EEES21_S21_S21_EEES22_NS_13DynamicBufferILNS_16AddressSpaceEnumE2ES1_S1I_Lb1ELNS_22AmdBufferCoherenceEnumE0EiEENS_12StaticBufferILS24_4EDF16_Li128ELb1EEEEEvRS1K_RKT_RKT1_RS1W_RKT0_RT2_,@function
_ZNK2ck32ThreadwiseTensorSliceTransfer_v4INS_9f8_fnuz_tEDF16_KNS_16TensorDescriptorINS_5TupleIJNS_5EmbedINS3_IJNS_17integral_constantIiLi16EEENS5_IiLi32EEES6_EEENS3_IJS6_NS5_IiLi256EEENS5_IiLi1EEEEEELb0EEENS_3XorINS3_IJS7_S6_EEELb1EEENS_11PassThroughIS6_EENS_7UnMergeINS3_IJS6_SA_EEELb0EEENSG_IS7_EESH_SH_NS_21Merge_v3_division_modINS3_IJS7_SA_EEEEESH_NSM_INS3_IJS6_S6_EEEEENSI_INS3_IJNS5_IiLi2EEESA_S6_EEELb0EEEEEENS3_IJNS_8SequenceIJLi0EEEENSV_IJLi2ELi1EEEENSV_IJLi3EEEENSV_IJLi5EEEENSV_IJLi4EEEENSV_IJLi6EEEENSV_IJLi7EEEENSV_IJLi9ELi8EEEENSV_IJLi10EEEENSV_IJLi11ELi13EEEENSV_IJLi12EEEEEEENS3_IJNSV_IJLi1ELi2ELi3EEEENSV_IJLi4ELi5EEEES11_NSV_IJLi7ELi8EEEENSV_IJLi9EEEES14_NSV_IJLi11EEEES16_NSV_IJLi13EEEENSV_IJLi14EEEENSV_IJLi15ELi16ELi17EEEEEEENSV_IJLi15ELi16ELi17ELi14EEEENS5_IlLl8192EEEEEKNS2_INS3_IJNS4_INS3_IJSR_SA_SA_NS5_IiLi64EEEEEENS3_IJS1L_NS5_IiLi128EEES1N_SA_EEELb0EEEEEENS3_IJSW_EEENS3_IJNSV_IJLi1ELi2ELi3ELi4EEEEEEES1S_NS5_IlLl128EEEEENSV_IJLi1ELi1ELi1ELi64EEEENSV_IJLi0ELi1ELi2ELi3EEEELi3ELi16ELi16ELb0EE3RunINS3_IJNS5_IiLi0EEES21_S21_S21_EEES22_NS_13DynamicBufferILNS_16AddressSpaceEnumE2ES1_S1I_Lb1ELNS_22AmdBufferCoherenceEnumE0EiEENS_12StaticBufferILS24_4EDF16_Li128ELb1EEEEEvRS1K_RKT_RKT1_RS1W_RKT0_RT2_: ; @_ZNK2ck32ThreadwiseTensorSliceTransfer_v4INS_9f8_fnuz_tEDF16_KNS_16TensorDescriptorINS_5TupleIJNS_5EmbedINS3_IJNS_17integral_constantIiLi16EEENS5_IiLi32EEES6_EEENS3_IJS6_NS5_IiLi256EEENS5_IiLi1EEEEEELb0EEENS_3XorINS3_IJS7_S6_EEELb1EEENS_11PassThroughIS6_EENS_7UnMergeINS3_IJS6_SA_EEELb0EEENSG_IS7_EESH_SH_NS_21Merge_v3_division_modINS3_IJS7_SA_EEEEESH_NSM_INS3_IJS6_S6_EEEEENSI_INS3_IJNS5_IiLi2EEESA_S6_EEELb0EEEEEENS3_IJNS_8SequenceIJLi0EEEENSV_IJLi2ELi1EEEENSV_IJLi3EEEENSV_IJLi5EEEENSV_IJLi4EEEENSV_IJLi6EEEENSV_IJLi7EEEENSV_IJLi9ELi8EEEENSV_IJLi10EEEENSV_IJLi11ELi13EEEENSV_IJLi12EEEEEEENS3_IJNSV_IJLi1ELi2ELi3EEEENSV_IJLi4ELi5EEEES11_NSV_IJLi7ELi8EEEENSV_IJLi9EEEES14_NSV_IJLi11EEEES16_NSV_IJLi13EEEENSV_IJLi14EEEENSV_IJLi15ELi16ELi17EEEEEEENSV_IJLi15ELi16ELi17ELi14EEEENS5_IlLl8192EEEEEKNS2_INS3_IJNS4_INS3_IJSR_SA_SA_NS5_IiLi64EEEEEENS3_IJS1L_NS5_IiLi128EEES1N_SA_EEELb0EEEEEENS3_IJSW_EEENS3_IJNSV_IJLi1ELi2ELi3ELi4EEEEEEES1S_NS5_IlLl128EEEEENSV_IJLi1ELi1ELi1ELi64EEEENSV_IJLi0ELi1ELi2ELi3EEEELi3ELi16ELi16ELb0EE3RunINS3_IJNS5_IiLi0EEES21_S21_S21_EEES22_NS_13DynamicBufferILNS_16AddressSpaceEnumE2ES1_S1I_Lb1ELNS_22AmdBufferCoherenceEnumE0EiEENS_12StaticBufferILS24_4EDF16_Li128ELb1EEEEEvRS1K_RKT_RKT1_RS1W_RKT0_RT2_
; %bb.0:
	s_waitcnt vmcnt(0) expcnt(0) lgkmcnt(0)
	flat_load_dword v6, v[0:1]
	flat_load_dwordx2 v[10:11], v[2:3]
	s_movk_i32 s4, 0x7f
                                        ; implicit-def: $sgpr10
	s_waitcnt vmcnt(0) lgkmcnt(0)
	v_ashrrev_i32_e32 v3, 31, v6
	v_add_co_u32_e32 v2, vcc, v10, v6
	v_addc_co_u32_e32 v3, vcc, v11, v3, vcc
	flat_load_dwordx4 v[6:9], v[2:3]
	s_waitcnt vmcnt(0) lgkmcnt(0)
	v_cmp_gt_i16_sdwa s[6:7], v6, s4 src0_sel:BYTE_0 src1_sel:DWORD
	s_mov_b64 s[4:5], 0
	s_and_saveexec_b64 s[8:9], s[6:7]
	s_xor_b64 s[6:7], exec, s[8:9]
	s_cbranch_execnz .LBB2_257
; %bb.1:
	s_or_saveexec_b64 s[6:7], s[6:7]
	v_mov_b32_e32 v2, s10
	s_xor_b64 exec, exec, s[6:7]
	s_cbranch_execnz .LBB2_260
.LBB2_2:
	s_or_b64 exec, exec, s[6:7]
	s_and_saveexec_b64 s[6:7], s[4:5]
	s_cbranch_execz .LBB2_4
.LBB2_3:
	v_and_b32_e32 v2, 7, v6
	v_ffbh_u32_e32 v13, v2
	v_min_u32_e32 v13, 32, v13
	v_lshrrev_b16_e32 v12, 3, v6
	v_subrev_u32_e32 v14, 28, v13
	v_and_b32_e32 v12, 15, v12
	v_lshlrev_b32_e32 v14, v14, v2
	v_sub_u32_e32 v13, 29, v13
	v_and_b32_e32 v14, 7, v14
	v_cmp_eq_u16_e32 vcc, 0, v12
	v_lshrrev_b16_e32 v3, 7, v6
	v_cndmask_b32_e32 v2, v2, v14, vcc
	v_cndmask_b32_e32 v12, v12, v13, vcc
	v_mov_b32_e32 v13, 0x3b800000
	v_lshlrev_b32_e32 v2, 20, v2
	v_lshlrev_b32_e32 v3, 31, v3
	v_lshl_add_u32 v12, v12, 23, v13
	v_or3_b32 v2, v3, v12, v2
.LBB2_4:
	s_or_b64 exec, exec, s[6:7]
	s_movk_i32 s4, 0x7f
	v_cmp_gt_i16_sdwa s[6:7], v6, s4 src0_sel:BYTE_1 src1_sel:DWORD
	s_mov_b64 s[4:5], 0
                                        ; implicit-def: $sgpr10
	s_and_saveexec_b64 s[8:9], s[6:7]
	s_xor_b64 s[6:7], exec, s[8:9]
	s_cbranch_execnz .LBB2_261
; %bb.5:
	s_or_saveexec_b64 s[6:7], s[6:7]
	v_mov_b32_e32 v3, s10
	s_xor_b64 exec, exec, s[6:7]
	s_cbranch_execnz .LBB2_264
.LBB2_6:
	s_or_b64 exec, exec, s[6:7]
	s_and_saveexec_b64 s[6:7], s[4:5]
	s_cbranch_execz .LBB2_8
.LBB2_7:
	v_mov_b32_e32 v3, 7
	v_and_b32_sdwa v3, v6, v3 dst_sel:DWORD dst_unused:UNUSED_PAD src0_sel:BYTE_1 src1_sel:DWORD
	v_ffbh_u32_e32 v14, v3
	v_min_u32_e32 v14, 32, v14
	v_lshrrev_b16_e32 v13, 11, v6
	v_subrev_u32_e32 v15, 28, v14
	v_and_b32_e32 v13, 15, v13
	v_lshlrev_b32_e32 v15, v15, v3
	v_sub_u32_e32 v14, 29, v14
	v_and_b32_e32 v15, 7, v15
	v_cmp_eq_u16_e32 vcc, 0, v13
	v_lshrrev_b16_e32 v12, 15, v6
	v_cndmask_b32_e32 v3, v3, v15, vcc
	v_cndmask_b32_e32 v13, v13, v14, vcc
	v_mov_b32_e32 v14, 0x3b800000
	v_lshlrev_b32_e32 v3, 20, v3
	v_lshlrev_b32_e32 v12, 31, v12
	v_lshl_add_u32 v13, v13, 23, v14
	v_or3_b32 v3, v12, v13, v3
.LBB2_8:
	s_or_b64 exec, exec, s[6:7]
	s_movk_i32 s4, 0xff
	v_and_b32_sdwa v13, v6, s4 dst_sel:DWORD dst_unused:UNUSED_PAD src0_sel:WORD_1 src1_sel:DWORD
	s_movk_i32 s4, 0x7f
	v_cmp_lt_i16_e32 vcc, s4, v13
	s_mov_b64 s[4:5], 0
                                        ; implicit-def: $sgpr10
	s_and_saveexec_b64 s[6:7], vcc
	s_xor_b64 s[6:7], exec, s[6:7]
	s_cbranch_execnz .LBB2_265
; %bb.9:
	s_or_saveexec_b64 s[6:7], s[6:7]
	v_mov_b32_e32 v12, s10
	s_xor_b64 exec, exec, s[6:7]
	s_cbranch_execnz .LBB2_268
.LBB2_10:
	s_or_b64 exec, exec, s[6:7]
	s_and_saveexec_b64 s[6:7], s[4:5]
	s_cbranch_execz .LBB2_12
.LBB2_11:
	v_mov_b32_e32 v12, 7
	v_and_b32_sdwa v13, v6, v12 dst_sel:DWORD dst_unused:UNUSED_PAD src0_sel:WORD_1 src1_sel:DWORD
	v_ffbh_u32_e32 v15, v13
	v_mov_b32_e32 v14, 3
	v_min_u32_e32 v15, 32, v15
	v_lshrrev_b16_sdwa v14, v14, v6 dst_sel:DWORD dst_unused:UNUSED_PAD src0_sel:DWORD src1_sel:WORD_1
	v_subrev_u32_e32 v16, 28, v15
	v_and_b32_e32 v14, 15, v14
	v_lshlrev_b32_e32 v16, v16, v13
	v_sub_u32_e32 v15, 29, v15
	v_and_b32_e32 v16, 7, v16
	v_cmp_eq_u16_e32 vcc, 0, v14
	v_lshrrev_b16_sdwa v12, v12, v6 dst_sel:DWORD dst_unused:UNUSED_PAD src0_sel:DWORD src1_sel:WORD_1
	v_cndmask_b32_e32 v13, v13, v16, vcc
	v_cndmask_b32_e32 v14, v14, v15, vcc
	v_mov_b32_e32 v15, 0x3b800000
	v_lshlrev_b32_e32 v13, 20, v13
	v_lshlrev_b32_e32 v12, 31, v12
	v_lshl_add_u32 v14, v14, 23, v15
	v_or3_b32 v12, v12, v14, v13
.LBB2_12:
	s_or_b64 exec, exec, s[6:7]
	v_mov_b32_e32 v13, 8
	v_lshrrev_b16_sdwa v14, v13, v6 dst_sel:DWORD dst_unused:UNUSED_PAD src0_sel:DWORD src1_sel:WORD_1
	s_movk_i32 s4, 0x7f
	v_cmp_lt_i16_e32 vcc, s4, v14
	s_mov_b64 s[4:5], 0
                                        ; implicit-def: $sgpr10
	s_and_saveexec_b64 s[6:7], vcc
	s_xor_b64 s[6:7], exec, s[6:7]
	s_cbranch_execnz .LBB2_269
; %bb.13:
	s_or_saveexec_b64 s[6:7], s[6:7]
	v_mov_b32_e32 v13, s10
	s_xor_b64 exec, exec, s[6:7]
	s_cbranch_execnz .LBB2_272
.LBB2_14:
	s_or_b64 exec, exec, s[6:7]
	s_and_saveexec_b64 s[6:7], s[4:5]
	s_cbranch_execz .LBB2_16
.LBB2_15:
	v_mov_b32_e32 v13, 8
	v_lshrrev_b16_sdwa v13, v13, v6 dst_sel:DWORD dst_unused:UNUSED_PAD src0_sel:DWORD src1_sel:WORD_1
	v_and_b32_e32 v13, 7, v13
	v_mov_b32_e32 v14, 15
	v_mov_b32_e32 v15, 11
	v_lshrrev_b16_sdwa v14, v14, v6 dst_sel:DWORD dst_unused:UNUSED_PAD src0_sel:DWORD src1_sel:WORD_1
	v_lshrrev_b16_sdwa v6, v15, v6 dst_sel:DWORD dst_unused:UNUSED_PAD src0_sel:DWORD src1_sel:WORD_1
	v_ffbh_u32_e32 v15, v13
	v_min_u32_e32 v15, 32, v15
	v_subrev_u32_e32 v16, 28, v15
	v_and_b32_e32 v6, 15, v6
	v_lshlrev_b32_e32 v16, v16, v13
	v_sub_u32_e32 v15, 29, v15
	v_and_b32_e32 v16, 7, v16
	v_cmp_eq_u16_e32 vcc, 0, v6
	v_cndmask_b32_e32 v13, v13, v16, vcc
	v_cndmask_b32_e32 v6, v6, v15, vcc
	v_mov_b32_e32 v15, 0x3b800000
	v_lshlrev_b32_e32 v13, 20, v13
	v_lshlrev_b32_e32 v14, 31, v14
	v_lshl_add_u32 v6, v6, 23, v15
	v_or3_b32 v13, v14, v6, v13
.LBB2_16:
	s_or_b64 exec, exec, s[6:7]
	s_movk_i32 s4, 0x7f
	v_cmp_gt_i16_sdwa s[6:7], v7, s4 src0_sel:BYTE_0 src1_sel:DWORD
	s_mov_b64 s[4:5], 0
                                        ; implicit-def: $sgpr10
	s_and_saveexec_b64 s[8:9], s[6:7]
	s_xor_b64 s[6:7], exec, s[8:9]
	s_cbranch_execnz .LBB2_273
; %bb.17:
	s_or_saveexec_b64 s[6:7], s[6:7]
	v_mov_b32_e32 v6, s10
	s_xor_b64 exec, exec, s[6:7]
	s_cbranch_execnz .LBB2_276
.LBB2_18:
	s_or_b64 exec, exec, s[6:7]
	s_and_saveexec_b64 s[6:7], s[4:5]
	s_cbranch_execz .LBB2_20
.LBB2_19:
	v_and_b32_e32 v6, 7, v7
	v_ffbh_u32_e32 v16, v6
	v_min_u32_e32 v16, 32, v16
	v_lshrrev_b16_e32 v15, 3, v7
	v_subrev_u32_e32 v17, 28, v16
	v_and_b32_e32 v15, 15, v15
	v_lshlrev_b32_e32 v17, v17, v6
	v_sub_u32_e32 v16, 29, v16
	v_and_b32_e32 v17, 7, v17
	v_cmp_eq_u16_e32 vcc, 0, v15
	v_lshrrev_b16_e32 v14, 7, v7
	v_cndmask_b32_e32 v6, v6, v17, vcc
	v_cndmask_b32_e32 v15, v15, v16, vcc
	v_mov_b32_e32 v16, 0x3b800000
	v_lshlrev_b32_e32 v6, 20, v6
	v_lshlrev_b32_e32 v14, 31, v14
	v_lshl_add_u32 v15, v15, 23, v16
	v_or3_b32 v6, v14, v15, v6
.LBB2_20:
	s_or_b64 exec, exec, s[6:7]
	s_movk_i32 s4, 0x7f
	v_cmp_gt_i16_sdwa s[6:7], v7, s4 src0_sel:BYTE_1 src1_sel:DWORD
	s_mov_b64 s[4:5], 0
                                        ; implicit-def: $sgpr10
	s_and_saveexec_b64 s[8:9], s[6:7]
	s_xor_b64 s[6:7], exec, s[8:9]
	s_cbranch_execnz .LBB2_277
; %bb.21:
	s_or_saveexec_b64 s[6:7], s[6:7]
	v_mov_b32_e32 v14, s10
	s_xor_b64 exec, exec, s[6:7]
	s_cbranch_execnz .LBB2_280
.LBB2_22:
	s_or_b64 exec, exec, s[6:7]
	s_and_saveexec_b64 s[6:7], s[4:5]
	s_cbranch_execz .LBB2_24
.LBB2_23:
	v_mov_b32_e32 v14, 7
	v_and_b32_sdwa v14, v7, v14 dst_sel:DWORD dst_unused:UNUSED_PAD src0_sel:BYTE_1 src1_sel:DWORD
	v_ffbh_u32_e32 v17, v14
	v_min_u32_e32 v17, 32, v17
	v_lshrrev_b16_e32 v16, 11, v7
	v_subrev_u32_e32 v18, 28, v17
	v_and_b32_e32 v16, 15, v16
	v_lshlrev_b32_e32 v18, v18, v14
	v_sub_u32_e32 v17, 29, v17
	v_and_b32_e32 v18, 7, v18
	v_cmp_eq_u16_e32 vcc, 0, v16
	v_lshrrev_b16_e32 v15, 15, v7
	v_cndmask_b32_e32 v14, v14, v18, vcc
	v_cndmask_b32_e32 v16, v16, v17, vcc
	v_mov_b32_e32 v17, 0x3b800000
	v_lshlrev_b32_e32 v14, 20, v14
	v_lshlrev_b32_e32 v15, 31, v15
	v_lshl_add_u32 v16, v16, 23, v17
	v_or3_b32 v14, v15, v16, v14
.LBB2_24:
	s_or_b64 exec, exec, s[6:7]
	s_movk_i32 s4, 0xff
	v_and_b32_sdwa v16, v7, s4 dst_sel:DWORD dst_unused:UNUSED_PAD src0_sel:WORD_1 src1_sel:DWORD
	s_movk_i32 s4, 0x7f
	v_cmp_lt_i16_e32 vcc, s4, v16
	s_mov_b64 s[4:5], 0
                                        ; implicit-def: $sgpr10
	s_and_saveexec_b64 s[6:7], vcc
	s_xor_b64 s[6:7], exec, s[6:7]
	s_cbranch_execnz .LBB2_281
; %bb.25:
	s_or_saveexec_b64 s[6:7], s[6:7]
	v_mov_b32_e32 v15, s10
	s_xor_b64 exec, exec, s[6:7]
	s_cbranch_execnz .LBB2_284
.LBB2_26:
	s_or_b64 exec, exec, s[6:7]
	s_and_saveexec_b64 s[6:7], s[4:5]
	s_cbranch_execz .LBB2_28
.LBB2_27:
	v_mov_b32_e32 v15, 7
	v_and_b32_sdwa v16, v7, v15 dst_sel:DWORD dst_unused:UNUSED_PAD src0_sel:WORD_1 src1_sel:DWORD
	v_ffbh_u32_e32 v18, v16
	v_mov_b32_e32 v17, 3
	v_min_u32_e32 v18, 32, v18
	v_lshrrev_b16_sdwa v17, v17, v7 dst_sel:DWORD dst_unused:UNUSED_PAD src0_sel:DWORD src1_sel:WORD_1
	v_subrev_u32_e32 v19, 28, v18
	v_and_b32_e32 v17, 15, v17
	v_lshlrev_b32_e32 v19, v19, v16
	v_sub_u32_e32 v18, 29, v18
	v_and_b32_e32 v19, 7, v19
	v_cmp_eq_u16_e32 vcc, 0, v17
	v_lshrrev_b16_sdwa v15, v15, v7 dst_sel:DWORD dst_unused:UNUSED_PAD src0_sel:DWORD src1_sel:WORD_1
	v_cndmask_b32_e32 v16, v16, v19, vcc
	v_cndmask_b32_e32 v17, v17, v18, vcc
	v_mov_b32_e32 v18, 0x3b800000
	v_lshlrev_b32_e32 v16, 20, v16
	v_lshlrev_b32_e32 v15, 31, v15
	v_lshl_add_u32 v17, v17, 23, v18
	v_or3_b32 v15, v15, v17, v16
.LBB2_28:
	s_or_b64 exec, exec, s[6:7]
	v_mov_b32_e32 v16, 8
	v_lshrrev_b16_sdwa v17, v16, v7 dst_sel:DWORD dst_unused:UNUSED_PAD src0_sel:DWORD src1_sel:WORD_1
	s_movk_i32 s4, 0x7f
	v_cmp_lt_i16_e32 vcc, s4, v17
	s_mov_b64 s[4:5], 0
                                        ; implicit-def: $sgpr10
	s_and_saveexec_b64 s[6:7], vcc
	s_xor_b64 s[6:7], exec, s[6:7]
	s_cbranch_execnz .LBB2_285
; %bb.29:
	s_or_saveexec_b64 s[6:7], s[6:7]
	v_mov_b32_e32 v16, s10
	s_xor_b64 exec, exec, s[6:7]
	s_cbranch_execnz .LBB2_288
.LBB2_30:
	s_or_b64 exec, exec, s[6:7]
	s_and_saveexec_b64 s[6:7], s[4:5]
	s_cbranch_execz .LBB2_32
.LBB2_31:
	v_mov_b32_e32 v16, 8
	v_lshrrev_b16_sdwa v16, v16, v7 dst_sel:DWORD dst_unused:UNUSED_PAD src0_sel:DWORD src1_sel:WORD_1
	v_and_b32_e32 v16, 7, v16
	v_mov_b32_e32 v17, 15
	v_mov_b32_e32 v18, 11
	v_lshrrev_b16_sdwa v17, v17, v7 dst_sel:DWORD dst_unused:UNUSED_PAD src0_sel:DWORD src1_sel:WORD_1
	v_lshrrev_b16_sdwa v7, v18, v7 dst_sel:DWORD dst_unused:UNUSED_PAD src0_sel:DWORD src1_sel:WORD_1
	v_ffbh_u32_e32 v18, v16
	v_min_u32_e32 v18, 32, v18
	v_subrev_u32_e32 v19, 28, v18
	v_and_b32_e32 v7, 15, v7
	v_lshlrev_b32_e32 v19, v19, v16
	v_sub_u32_e32 v18, 29, v18
	v_and_b32_e32 v19, 7, v19
	v_cmp_eq_u16_e32 vcc, 0, v7
	v_cndmask_b32_e32 v16, v16, v19, vcc
	v_cndmask_b32_e32 v7, v7, v18, vcc
	v_mov_b32_e32 v18, 0x3b800000
	v_lshlrev_b32_e32 v16, 20, v16
	v_lshlrev_b32_e32 v17, 31, v17
	v_lshl_add_u32 v7, v7, 23, v18
	v_or3_b32 v16, v17, v7, v16
.LBB2_32:
	s_or_b64 exec, exec, s[6:7]
	s_movk_i32 s4, 0x7f
	v_cmp_gt_i16_sdwa s[6:7], v8, s4 src0_sel:BYTE_0 src1_sel:DWORD
	s_mov_b64 s[4:5], 0
                                        ; implicit-def: $sgpr10
	s_and_saveexec_b64 s[8:9], s[6:7]
	s_xor_b64 s[6:7], exec, s[8:9]
	s_cbranch_execnz .LBB2_289
; %bb.33:
	s_or_saveexec_b64 s[6:7], s[6:7]
	v_mov_b32_e32 v7, s10
	s_xor_b64 exec, exec, s[6:7]
	s_cbranch_execnz .LBB2_292
.LBB2_34:
	s_or_b64 exec, exec, s[6:7]
	s_and_saveexec_b64 s[6:7], s[4:5]
	s_cbranch_execz .LBB2_36
.LBB2_35:
	v_and_b32_e32 v7, 7, v8
	v_ffbh_u32_e32 v19, v7
	v_min_u32_e32 v19, 32, v19
	v_lshrrev_b16_e32 v18, 3, v8
	v_subrev_u32_e32 v20, 28, v19
	v_and_b32_e32 v18, 15, v18
	v_lshlrev_b32_e32 v20, v20, v7
	v_sub_u32_e32 v19, 29, v19
	v_and_b32_e32 v20, 7, v20
	v_cmp_eq_u16_e32 vcc, 0, v18
	v_lshrrev_b16_e32 v17, 7, v8
	v_cndmask_b32_e32 v7, v7, v20, vcc
	v_cndmask_b32_e32 v18, v18, v19, vcc
	v_mov_b32_e32 v19, 0x3b800000
	v_lshlrev_b32_e32 v7, 20, v7
	v_lshlrev_b32_e32 v17, 31, v17
	v_lshl_add_u32 v18, v18, 23, v19
	v_or3_b32 v7, v17, v18, v7
.LBB2_36:
	s_or_b64 exec, exec, s[6:7]
	s_movk_i32 s4, 0x7f
	v_cmp_gt_i16_sdwa s[6:7], v8, s4 src0_sel:BYTE_1 src1_sel:DWORD
	s_mov_b64 s[4:5], 0
                                        ; implicit-def: $sgpr10
	s_and_saveexec_b64 s[8:9], s[6:7]
	s_xor_b64 s[6:7], exec, s[8:9]
	s_cbranch_execnz .LBB2_293
; %bb.37:
	s_or_saveexec_b64 s[6:7], s[6:7]
	v_mov_b32_e32 v17, s10
	s_xor_b64 exec, exec, s[6:7]
	s_cbranch_execnz .LBB2_296
.LBB2_38:
	s_or_b64 exec, exec, s[6:7]
	s_and_saveexec_b64 s[6:7], s[4:5]
	s_cbranch_execz .LBB2_40
.LBB2_39:
	v_mov_b32_e32 v17, 7
	v_and_b32_sdwa v17, v8, v17 dst_sel:DWORD dst_unused:UNUSED_PAD src0_sel:BYTE_1 src1_sel:DWORD
	v_ffbh_u32_e32 v20, v17
	v_min_u32_e32 v20, 32, v20
	v_lshrrev_b16_e32 v19, 11, v8
	v_subrev_u32_e32 v21, 28, v20
	v_and_b32_e32 v19, 15, v19
	v_lshlrev_b32_e32 v21, v21, v17
	v_sub_u32_e32 v20, 29, v20
	v_and_b32_e32 v21, 7, v21
	v_cmp_eq_u16_e32 vcc, 0, v19
	v_lshrrev_b16_e32 v18, 15, v8
	v_cndmask_b32_e32 v17, v17, v21, vcc
	v_cndmask_b32_e32 v19, v19, v20, vcc
	v_mov_b32_e32 v20, 0x3b800000
	v_lshlrev_b32_e32 v17, 20, v17
	v_lshlrev_b32_e32 v18, 31, v18
	v_lshl_add_u32 v19, v19, 23, v20
	v_or3_b32 v17, v18, v19, v17
.LBB2_40:
	s_or_b64 exec, exec, s[6:7]
	s_movk_i32 s4, 0xff
	v_and_b32_sdwa v19, v8, s4 dst_sel:DWORD dst_unused:UNUSED_PAD src0_sel:WORD_1 src1_sel:DWORD
	s_movk_i32 s4, 0x7f
	v_cmp_lt_i16_e32 vcc, s4, v19
	s_mov_b64 s[4:5], 0
                                        ; implicit-def: $sgpr10
	s_and_saveexec_b64 s[6:7], vcc
	s_xor_b64 s[6:7], exec, s[6:7]
	s_cbranch_execnz .LBB2_297
; %bb.41:
	s_or_saveexec_b64 s[6:7], s[6:7]
	v_mov_b32_e32 v18, s10
	s_xor_b64 exec, exec, s[6:7]
	s_cbranch_execnz .LBB2_300
.LBB2_42:
	s_or_b64 exec, exec, s[6:7]
	s_and_saveexec_b64 s[6:7], s[4:5]
	s_cbranch_execz .LBB2_44
.LBB2_43:
	v_mov_b32_e32 v18, 7
	v_and_b32_sdwa v19, v8, v18 dst_sel:DWORD dst_unused:UNUSED_PAD src0_sel:WORD_1 src1_sel:DWORD
	v_ffbh_u32_e32 v21, v19
	v_mov_b32_e32 v20, 3
	v_min_u32_e32 v21, 32, v21
	v_lshrrev_b16_sdwa v20, v20, v8 dst_sel:DWORD dst_unused:UNUSED_PAD src0_sel:DWORD src1_sel:WORD_1
	v_subrev_u32_e32 v22, 28, v21
	v_and_b32_e32 v20, 15, v20
	v_lshlrev_b32_e32 v22, v22, v19
	v_sub_u32_e32 v21, 29, v21
	v_and_b32_e32 v22, 7, v22
	v_cmp_eq_u16_e32 vcc, 0, v20
	v_lshrrev_b16_sdwa v18, v18, v8 dst_sel:DWORD dst_unused:UNUSED_PAD src0_sel:DWORD src1_sel:WORD_1
	v_cndmask_b32_e32 v19, v19, v22, vcc
	v_cndmask_b32_e32 v20, v20, v21, vcc
	v_mov_b32_e32 v21, 0x3b800000
	v_lshlrev_b32_e32 v19, 20, v19
	v_lshlrev_b32_e32 v18, 31, v18
	v_lshl_add_u32 v20, v20, 23, v21
	v_or3_b32 v18, v18, v20, v19
.LBB2_44:
	s_or_b64 exec, exec, s[6:7]
	v_mov_b32_e32 v19, 8
	v_lshrrev_b16_sdwa v20, v19, v8 dst_sel:DWORD dst_unused:UNUSED_PAD src0_sel:DWORD src1_sel:WORD_1
	s_movk_i32 s4, 0x7f
	v_cmp_lt_i16_e32 vcc, s4, v20
	s_mov_b64 s[4:5], 0
                                        ; implicit-def: $sgpr10
	s_and_saveexec_b64 s[6:7], vcc
	s_xor_b64 s[6:7], exec, s[6:7]
	s_cbranch_execnz .LBB2_301
; %bb.45:
	s_or_saveexec_b64 s[6:7], s[6:7]
	v_mov_b32_e32 v19, s10
	s_xor_b64 exec, exec, s[6:7]
	s_cbranch_execnz .LBB2_304
.LBB2_46:
	s_or_b64 exec, exec, s[6:7]
	s_and_saveexec_b64 s[6:7], s[4:5]
	s_cbranch_execz .LBB2_48
.LBB2_47:
	v_mov_b32_e32 v19, 8
	v_lshrrev_b16_sdwa v19, v19, v8 dst_sel:DWORD dst_unused:UNUSED_PAD src0_sel:DWORD src1_sel:WORD_1
	v_and_b32_e32 v19, 7, v19
	v_mov_b32_e32 v20, 15
	v_mov_b32_e32 v21, 11
	v_lshrrev_b16_sdwa v20, v20, v8 dst_sel:DWORD dst_unused:UNUSED_PAD src0_sel:DWORD src1_sel:WORD_1
	v_lshrrev_b16_sdwa v8, v21, v8 dst_sel:DWORD dst_unused:UNUSED_PAD src0_sel:DWORD src1_sel:WORD_1
	v_ffbh_u32_e32 v21, v19
	v_min_u32_e32 v21, 32, v21
	v_subrev_u32_e32 v22, 28, v21
	v_and_b32_e32 v8, 15, v8
	v_lshlrev_b32_e32 v22, v22, v19
	v_sub_u32_e32 v21, 29, v21
	v_and_b32_e32 v22, 7, v22
	v_cmp_eq_u16_e32 vcc, 0, v8
	v_cndmask_b32_e32 v19, v19, v22, vcc
	v_cndmask_b32_e32 v8, v8, v21, vcc
	v_mov_b32_e32 v21, 0x3b800000
	v_lshlrev_b32_e32 v19, 20, v19
	v_lshlrev_b32_e32 v20, 31, v20
	v_lshl_add_u32 v8, v8, 23, v21
	v_or3_b32 v19, v20, v8, v19
.LBB2_48:
	s_or_b64 exec, exec, s[6:7]
	s_movk_i32 s4, 0x7f
	v_cmp_gt_i16_sdwa s[6:7], v9, s4 src0_sel:BYTE_0 src1_sel:DWORD
	s_mov_b64 s[4:5], 0
                                        ; implicit-def: $sgpr10
	s_and_saveexec_b64 s[8:9], s[6:7]
	s_xor_b64 s[6:7], exec, s[8:9]
	s_cbranch_execnz .LBB2_305
; %bb.49:
	s_or_saveexec_b64 s[6:7], s[6:7]
	v_mov_b32_e32 v8, s10
	s_xor_b64 exec, exec, s[6:7]
	s_cbranch_execnz .LBB2_308
.LBB2_50:
	s_or_b64 exec, exec, s[6:7]
	s_and_saveexec_b64 s[6:7], s[4:5]
	s_cbranch_execz .LBB2_52
.LBB2_51:
	v_and_b32_e32 v8, 7, v9
	v_ffbh_u32_e32 v22, v8
	v_min_u32_e32 v22, 32, v22
	v_lshrrev_b16_e32 v21, 3, v9
	v_subrev_u32_e32 v23, 28, v22
	v_and_b32_e32 v21, 15, v21
	v_lshlrev_b32_e32 v23, v23, v8
	v_sub_u32_e32 v22, 29, v22
	v_and_b32_e32 v23, 7, v23
	v_cmp_eq_u16_e32 vcc, 0, v21
	v_lshrrev_b16_e32 v20, 7, v9
	v_cndmask_b32_e32 v8, v8, v23, vcc
	v_cndmask_b32_e32 v21, v21, v22, vcc
	v_mov_b32_e32 v22, 0x3b800000
	v_lshlrev_b32_e32 v8, 20, v8
	v_lshlrev_b32_e32 v20, 31, v20
	v_lshl_add_u32 v21, v21, 23, v22
	v_or3_b32 v8, v20, v21, v8
.LBB2_52:
	s_or_b64 exec, exec, s[6:7]
	s_movk_i32 s4, 0x7f
	v_cmp_gt_i16_sdwa s[6:7], v9, s4 src0_sel:BYTE_1 src1_sel:DWORD
	s_mov_b64 s[4:5], 0
                                        ; implicit-def: $sgpr10
	s_and_saveexec_b64 s[8:9], s[6:7]
	s_xor_b64 s[6:7], exec, s[8:9]
	s_cbranch_execnz .LBB2_309
; %bb.53:
	s_or_saveexec_b64 s[6:7], s[6:7]
	v_mov_b32_e32 v20, s10
	s_xor_b64 exec, exec, s[6:7]
	s_cbranch_execnz .LBB2_312
.LBB2_54:
	s_or_b64 exec, exec, s[6:7]
	s_and_saveexec_b64 s[6:7], s[4:5]
	s_cbranch_execz .LBB2_56
.LBB2_55:
	v_mov_b32_e32 v20, 7
	v_and_b32_sdwa v20, v9, v20 dst_sel:DWORD dst_unused:UNUSED_PAD src0_sel:BYTE_1 src1_sel:DWORD
	v_ffbh_u32_e32 v23, v20
	v_min_u32_e32 v23, 32, v23
	v_lshrrev_b16_e32 v22, 11, v9
	v_subrev_u32_e32 v24, 28, v23
	v_and_b32_e32 v22, 15, v22
	v_lshlrev_b32_e32 v24, v24, v20
	v_sub_u32_e32 v23, 29, v23
	v_and_b32_e32 v24, 7, v24
	v_cmp_eq_u16_e32 vcc, 0, v22
	v_lshrrev_b16_e32 v21, 15, v9
	v_cndmask_b32_e32 v20, v20, v24, vcc
	v_cndmask_b32_e32 v22, v22, v23, vcc
	v_mov_b32_e32 v23, 0x3b800000
	v_lshlrev_b32_e32 v20, 20, v20
	v_lshlrev_b32_e32 v21, 31, v21
	v_lshl_add_u32 v22, v22, 23, v23
	v_or3_b32 v20, v21, v22, v20
.LBB2_56:
	s_or_b64 exec, exec, s[6:7]
	s_movk_i32 s4, 0xff
	v_and_b32_sdwa v22, v9, s4 dst_sel:DWORD dst_unused:UNUSED_PAD src0_sel:WORD_1 src1_sel:DWORD
	s_movk_i32 s4, 0x7f
	v_cmp_lt_i16_e32 vcc, s4, v22
	s_mov_b64 s[4:5], 0
                                        ; implicit-def: $sgpr10
	s_and_saveexec_b64 s[6:7], vcc
	s_xor_b64 s[6:7], exec, s[6:7]
	s_cbranch_execnz .LBB2_313
; %bb.57:
	s_or_saveexec_b64 s[6:7], s[6:7]
	v_mov_b32_e32 v21, s10
	s_xor_b64 exec, exec, s[6:7]
	s_cbranch_execnz .LBB2_316
.LBB2_58:
	s_or_b64 exec, exec, s[6:7]
	s_and_saveexec_b64 s[6:7], s[4:5]
	s_cbranch_execz .LBB2_60
.LBB2_59:
	v_mov_b32_e32 v21, 7
	v_and_b32_sdwa v22, v9, v21 dst_sel:DWORD dst_unused:UNUSED_PAD src0_sel:WORD_1 src1_sel:DWORD
	v_ffbh_u32_e32 v24, v22
	v_mov_b32_e32 v23, 3
	v_min_u32_e32 v24, 32, v24
	v_lshrrev_b16_sdwa v23, v23, v9 dst_sel:DWORD dst_unused:UNUSED_PAD src0_sel:DWORD src1_sel:WORD_1
	v_subrev_u32_e32 v25, 28, v24
	v_and_b32_e32 v23, 15, v23
	v_lshlrev_b32_e32 v25, v25, v22
	v_sub_u32_e32 v24, 29, v24
	v_and_b32_e32 v25, 7, v25
	v_cmp_eq_u16_e32 vcc, 0, v23
	v_lshrrev_b16_sdwa v21, v21, v9 dst_sel:DWORD dst_unused:UNUSED_PAD src0_sel:DWORD src1_sel:WORD_1
	v_cndmask_b32_e32 v22, v22, v25, vcc
	v_cndmask_b32_e32 v23, v23, v24, vcc
	v_mov_b32_e32 v24, 0x3b800000
	v_lshlrev_b32_e32 v22, 20, v22
	v_lshlrev_b32_e32 v21, 31, v21
	v_lshl_add_u32 v23, v23, 23, v24
	v_or3_b32 v21, v21, v23, v22
.LBB2_60:
	s_or_b64 exec, exec, s[6:7]
	v_mov_b32_e32 v22, 8
	v_lshrrev_b16_sdwa v23, v22, v9 dst_sel:DWORD dst_unused:UNUSED_PAD src0_sel:DWORD src1_sel:WORD_1
	s_movk_i32 s4, 0x7f
	v_cmp_lt_i16_e32 vcc, s4, v23
	s_mov_b64 s[4:5], 0
                                        ; implicit-def: $sgpr10
	s_and_saveexec_b64 s[6:7], vcc
	s_xor_b64 s[6:7], exec, s[6:7]
	s_cbranch_execnz .LBB2_317
; %bb.61:
	s_or_saveexec_b64 s[6:7], s[6:7]
	v_mov_b32_e32 v22, s10
	s_xor_b64 exec, exec, s[6:7]
	s_cbranch_execnz .LBB2_320
.LBB2_62:
	s_or_b64 exec, exec, s[6:7]
	s_and_saveexec_b64 s[6:7], s[4:5]
	s_cbranch_execz .LBB2_64
.LBB2_63:
	v_mov_b32_e32 v22, 8
	v_lshrrev_b16_sdwa v22, v22, v9 dst_sel:DWORD dst_unused:UNUSED_PAD src0_sel:DWORD src1_sel:WORD_1
	v_and_b32_e32 v22, 7, v22
	v_mov_b32_e32 v23, 15
	v_mov_b32_e32 v24, 11
	v_lshrrev_b16_sdwa v23, v23, v9 dst_sel:DWORD dst_unused:UNUSED_PAD src0_sel:DWORD src1_sel:WORD_1
	v_lshrrev_b16_sdwa v9, v24, v9 dst_sel:DWORD dst_unused:UNUSED_PAD src0_sel:DWORD src1_sel:WORD_1
	v_ffbh_u32_e32 v24, v22
	v_min_u32_e32 v24, 32, v24
	v_subrev_u32_e32 v25, 28, v24
	v_and_b32_e32 v9, 15, v9
	v_lshlrev_b32_e32 v25, v25, v22
	v_sub_u32_e32 v24, 29, v24
	v_and_b32_e32 v25, 7, v25
	v_cmp_eq_u16_e32 vcc, 0, v9
	v_cndmask_b32_e32 v22, v22, v25, vcc
	v_cndmask_b32_e32 v9, v9, v24, vcc
	v_mov_b32_e32 v24, 0x3b800000
	v_lshlrev_b32_e32 v22, 20, v22
	v_lshlrev_b32_e32 v23, 31, v23
	v_lshl_add_u32 v9, v9, 23, v24
	v_or3_b32 v22, v23, v9, v22
.LBB2_64:
	s_or_b64 exec, exec, s[6:7]
	v_cvt_pkrtz_f16_f32 v24, v2, v3
	v_cvt_pkrtz_f16_f32 v25, v12, v13
	;; [unrolled: 1-line block ×8, first 2 shown]
	flat_store_dwordx4 v[4:5], v[24:27]
	flat_store_dwordx4 v[4:5], v[6:9] offset:16
	flat_load_dwordx2 v[2:3], v[0:1] offset:52
	flat_load_dwordx2 v[12:13], v[0:1] offset:16
	s_nop 0
	flat_load_dword v9, v[0:1] offset:44
	flat_load_dwordx3 v[6:8], v[0:1]
	s_movk_i32 s4, 0x7f
                                        ; implicit-def: $sgpr10
	s_waitcnt vmcnt(0) lgkmcnt(0)
	v_add_u32_e32 v3, 16, v3
	v_ashrrev_i32_e32 v14, 31, v3
	v_sub_u32_e32 v9, v13, v9
	v_ashrrev_i32_e32 v13, 31, v12
	v_sub_u32_e32 v8, v12, v8
	v_lshrrev_b32_e32 v13, 28, v13
	v_lshl_add_u32 v6, v8, 8, v6
	v_lshrrev_b32_e32 v8, 28, v14
	v_add_u32_e32 v13, v12, v13
	v_sub_u32_e32 v2, v6, v2
	v_add_u32_e32 v6, v3, v8
	v_and_b32_e32 v8, 0xffffff0, v13
	v_lshrrev_b32_e32 v13, 4, v6
	v_and_b32_e32 v6, -16, v6
	v_sub_u32_e32 v8, v12, v8
	v_sub_u32_e32 v3, v3, v6
	v_add_u32_e32 v6, v9, v13
	v_xor_b32_e32 v6, v6, v8
	v_sub_u32_e32 v6, v6, v7
	v_lshlrev_b32_e32 v6, 4, v6
	v_add3_u32 v2, v2, v3, v6
	v_ashrrev_i32_e32 v3, 31, v2
	v_add_co_u32_e32 v2, vcc, v10, v2
	v_addc_co_u32_e32 v3, vcc, v11, v3, vcc
	flat_load_dwordx4 v[6:9], v[2:3]
	s_waitcnt vmcnt(0) lgkmcnt(0)
	v_cmp_gt_i16_sdwa s[6:7], v6, s4 src0_sel:BYTE_0 src1_sel:DWORD
	s_mov_b64 s[4:5], 0
	s_and_saveexec_b64 s[8:9], s[6:7]
	s_xor_b64 s[6:7], exec, s[8:9]
	s_cbranch_execnz .LBB2_321
; %bb.65:
	s_or_saveexec_b64 s[6:7], s[6:7]
	v_mov_b32_e32 v2, s10
	s_xor_b64 exec, exec, s[6:7]
	s_cbranch_execnz .LBB2_324
.LBB2_66:
	s_or_b64 exec, exec, s[6:7]
	s_and_saveexec_b64 s[6:7], s[4:5]
	s_cbranch_execz .LBB2_68
.LBB2_67:
	v_and_b32_e32 v2, 7, v6
	v_ffbh_u32_e32 v13, v2
	v_min_u32_e32 v13, 32, v13
	v_lshrrev_b16_e32 v12, 3, v6
	v_subrev_u32_e32 v14, 28, v13
	v_and_b32_e32 v12, 15, v12
	v_lshlrev_b32_e32 v14, v14, v2
	v_sub_u32_e32 v13, 29, v13
	v_and_b32_e32 v14, 7, v14
	v_cmp_eq_u16_e32 vcc, 0, v12
	v_lshrrev_b16_e32 v3, 7, v6
	v_cndmask_b32_e32 v2, v2, v14, vcc
	v_cndmask_b32_e32 v12, v12, v13, vcc
	v_mov_b32_e32 v13, 0x3b800000
	v_lshlrev_b32_e32 v2, 20, v2
	v_lshlrev_b32_e32 v3, 31, v3
	v_lshl_add_u32 v12, v12, 23, v13
	v_or3_b32 v2, v3, v12, v2
.LBB2_68:
	s_or_b64 exec, exec, s[6:7]
	s_movk_i32 s4, 0x7f
	v_cmp_gt_i16_sdwa s[6:7], v6, s4 src0_sel:BYTE_1 src1_sel:DWORD
	s_mov_b64 s[4:5], 0
                                        ; implicit-def: $sgpr10
	s_and_saveexec_b64 s[8:9], s[6:7]
	s_xor_b64 s[6:7], exec, s[8:9]
	s_cbranch_execnz .LBB2_325
; %bb.69:
	s_or_saveexec_b64 s[6:7], s[6:7]
	v_mov_b32_e32 v3, s10
	s_xor_b64 exec, exec, s[6:7]
	s_cbranch_execnz .LBB2_328
.LBB2_70:
	s_or_b64 exec, exec, s[6:7]
	s_and_saveexec_b64 s[6:7], s[4:5]
	s_cbranch_execz .LBB2_72
.LBB2_71:
	v_mov_b32_e32 v3, 7
	v_and_b32_sdwa v3, v6, v3 dst_sel:DWORD dst_unused:UNUSED_PAD src0_sel:BYTE_1 src1_sel:DWORD
	v_ffbh_u32_e32 v14, v3
	v_min_u32_e32 v14, 32, v14
	v_lshrrev_b16_e32 v13, 11, v6
	v_subrev_u32_e32 v15, 28, v14
	v_and_b32_e32 v13, 15, v13
	v_lshlrev_b32_e32 v15, v15, v3
	v_sub_u32_e32 v14, 29, v14
	v_and_b32_e32 v15, 7, v15
	v_cmp_eq_u16_e32 vcc, 0, v13
	v_lshrrev_b16_e32 v12, 15, v6
	v_cndmask_b32_e32 v3, v3, v15, vcc
	v_cndmask_b32_e32 v13, v13, v14, vcc
	v_mov_b32_e32 v14, 0x3b800000
	v_lshlrev_b32_e32 v3, 20, v3
	v_lshlrev_b32_e32 v12, 31, v12
	v_lshl_add_u32 v13, v13, 23, v14
	v_or3_b32 v3, v12, v13, v3
.LBB2_72:
	s_or_b64 exec, exec, s[6:7]
	s_movk_i32 s4, 0xff
	v_and_b32_sdwa v13, v6, s4 dst_sel:DWORD dst_unused:UNUSED_PAD src0_sel:WORD_1 src1_sel:DWORD
	s_movk_i32 s4, 0x7f
	v_cmp_lt_i16_e32 vcc, s4, v13
	s_mov_b64 s[4:5], 0
                                        ; implicit-def: $sgpr10
	s_and_saveexec_b64 s[6:7], vcc
	s_xor_b64 s[6:7], exec, s[6:7]
	s_cbranch_execnz .LBB2_329
; %bb.73:
	s_or_saveexec_b64 s[6:7], s[6:7]
	v_mov_b32_e32 v12, s10
	s_xor_b64 exec, exec, s[6:7]
	s_cbranch_execnz .LBB2_332
.LBB2_74:
	s_or_b64 exec, exec, s[6:7]
	s_and_saveexec_b64 s[6:7], s[4:5]
	s_cbranch_execz .LBB2_76
.LBB2_75:
	v_mov_b32_e32 v12, 7
	v_and_b32_sdwa v13, v6, v12 dst_sel:DWORD dst_unused:UNUSED_PAD src0_sel:WORD_1 src1_sel:DWORD
	v_ffbh_u32_e32 v15, v13
	v_mov_b32_e32 v14, 3
	v_min_u32_e32 v15, 32, v15
	v_lshrrev_b16_sdwa v14, v14, v6 dst_sel:DWORD dst_unused:UNUSED_PAD src0_sel:DWORD src1_sel:WORD_1
	v_subrev_u32_e32 v16, 28, v15
	v_and_b32_e32 v14, 15, v14
	v_lshlrev_b32_e32 v16, v16, v13
	v_sub_u32_e32 v15, 29, v15
	v_and_b32_e32 v16, 7, v16
	v_cmp_eq_u16_e32 vcc, 0, v14
	v_lshrrev_b16_sdwa v12, v12, v6 dst_sel:DWORD dst_unused:UNUSED_PAD src0_sel:DWORD src1_sel:WORD_1
	v_cndmask_b32_e32 v13, v13, v16, vcc
	v_cndmask_b32_e32 v14, v14, v15, vcc
	v_mov_b32_e32 v15, 0x3b800000
	v_lshlrev_b32_e32 v13, 20, v13
	v_lshlrev_b32_e32 v12, 31, v12
	v_lshl_add_u32 v14, v14, 23, v15
	v_or3_b32 v12, v12, v14, v13
.LBB2_76:
	s_or_b64 exec, exec, s[6:7]
	v_mov_b32_e32 v13, 8
	v_lshrrev_b16_sdwa v14, v13, v6 dst_sel:DWORD dst_unused:UNUSED_PAD src0_sel:DWORD src1_sel:WORD_1
	s_movk_i32 s4, 0x7f
	v_cmp_lt_i16_e32 vcc, s4, v14
	s_mov_b64 s[4:5], 0
                                        ; implicit-def: $sgpr10
	s_and_saveexec_b64 s[6:7], vcc
	s_xor_b64 s[6:7], exec, s[6:7]
	s_cbranch_execnz .LBB2_333
; %bb.77:
	s_or_saveexec_b64 s[6:7], s[6:7]
	v_mov_b32_e32 v13, s10
	s_xor_b64 exec, exec, s[6:7]
	s_cbranch_execnz .LBB2_336
.LBB2_78:
	s_or_b64 exec, exec, s[6:7]
	s_and_saveexec_b64 s[6:7], s[4:5]
	s_cbranch_execz .LBB2_80
.LBB2_79:
	v_mov_b32_e32 v13, 8
	v_lshrrev_b16_sdwa v13, v13, v6 dst_sel:DWORD dst_unused:UNUSED_PAD src0_sel:DWORD src1_sel:WORD_1
	v_and_b32_e32 v13, 7, v13
	v_mov_b32_e32 v14, 15
	v_mov_b32_e32 v15, 11
	v_lshrrev_b16_sdwa v14, v14, v6 dst_sel:DWORD dst_unused:UNUSED_PAD src0_sel:DWORD src1_sel:WORD_1
	v_lshrrev_b16_sdwa v6, v15, v6 dst_sel:DWORD dst_unused:UNUSED_PAD src0_sel:DWORD src1_sel:WORD_1
	v_ffbh_u32_e32 v15, v13
	v_min_u32_e32 v15, 32, v15
	v_subrev_u32_e32 v16, 28, v15
	v_and_b32_e32 v6, 15, v6
	v_lshlrev_b32_e32 v16, v16, v13
	v_sub_u32_e32 v15, 29, v15
	v_and_b32_e32 v16, 7, v16
	v_cmp_eq_u16_e32 vcc, 0, v6
	v_cndmask_b32_e32 v13, v13, v16, vcc
	v_cndmask_b32_e32 v6, v6, v15, vcc
	v_mov_b32_e32 v15, 0x3b800000
	v_lshlrev_b32_e32 v13, 20, v13
	v_lshlrev_b32_e32 v14, 31, v14
	v_lshl_add_u32 v6, v6, 23, v15
	v_or3_b32 v13, v14, v6, v13
.LBB2_80:
	s_or_b64 exec, exec, s[6:7]
	s_movk_i32 s4, 0x7f
	v_cmp_gt_i16_sdwa s[6:7], v7, s4 src0_sel:BYTE_0 src1_sel:DWORD
	s_mov_b64 s[4:5], 0
                                        ; implicit-def: $sgpr10
	s_and_saveexec_b64 s[8:9], s[6:7]
	s_xor_b64 s[6:7], exec, s[8:9]
	s_cbranch_execnz .LBB2_337
; %bb.81:
	s_or_saveexec_b64 s[6:7], s[6:7]
	v_mov_b32_e32 v6, s10
	s_xor_b64 exec, exec, s[6:7]
	s_cbranch_execnz .LBB2_340
.LBB2_82:
	s_or_b64 exec, exec, s[6:7]
	s_and_saveexec_b64 s[6:7], s[4:5]
	s_cbranch_execz .LBB2_84
.LBB2_83:
	v_and_b32_e32 v6, 7, v7
	v_ffbh_u32_e32 v16, v6
	v_min_u32_e32 v16, 32, v16
	v_lshrrev_b16_e32 v15, 3, v7
	v_subrev_u32_e32 v17, 28, v16
	v_and_b32_e32 v15, 15, v15
	v_lshlrev_b32_e32 v17, v17, v6
	v_sub_u32_e32 v16, 29, v16
	v_and_b32_e32 v17, 7, v17
	v_cmp_eq_u16_e32 vcc, 0, v15
	v_lshrrev_b16_e32 v14, 7, v7
	v_cndmask_b32_e32 v6, v6, v17, vcc
	v_cndmask_b32_e32 v15, v15, v16, vcc
	v_mov_b32_e32 v16, 0x3b800000
	v_lshlrev_b32_e32 v6, 20, v6
	v_lshlrev_b32_e32 v14, 31, v14
	v_lshl_add_u32 v15, v15, 23, v16
	v_or3_b32 v6, v14, v15, v6
.LBB2_84:
	s_or_b64 exec, exec, s[6:7]
	s_movk_i32 s4, 0x7f
	v_cmp_gt_i16_sdwa s[6:7], v7, s4 src0_sel:BYTE_1 src1_sel:DWORD
	s_mov_b64 s[4:5], 0
                                        ; implicit-def: $sgpr10
	s_and_saveexec_b64 s[8:9], s[6:7]
	s_xor_b64 s[6:7], exec, s[8:9]
	s_cbranch_execnz .LBB2_341
; %bb.85:
	s_or_saveexec_b64 s[6:7], s[6:7]
	v_mov_b32_e32 v14, s10
	s_xor_b64 exec, exec, s[6:7]
	s_cbranch_execnz .LBB2_344
.LBB2_86:
	s_or_b64 exec, exec, s[6:7]
	s_and_saveexec_b64 s[6:7], s[4:5]
	s_cbranch_execz .LBB2_88
.LBB2_87:
	v_mov_b32_e32 v14, 7
	v_and_b32_sdwa v14, v7, v14 dst_sel:DWORD dst_unused:UNUSED_PAD src0_sel:BYTE_1 src1_sel:DWORD
	v_ffbh_u32_e32 v17, v14
	v_min_u32_e32 v17, 32, v17
	v_lshrrev_b16_e32 v16, 11, v7
	v_subrev_u32_e32 v18, 28, v17
	v_and_b32_e32 v16, 15, v16
	v_lshlrev_b32_e32 v18, v18, v14
	v_sub_u32_e32 v17, 29, v17
	v_and_b32_e32 v18, 7, v18
	v_cmp_eq_u16_e32 vcc, 0, v16
	v_lshrrev_b16_e32 v15, 15, v7
	v_cndmask_b32_e32 v14, v14, v18, vcc
	v_cndmask_b32_e32 v16, v16, v17, vcc
	v_mov_b32_e32 v17, 0x3b800000
	v_lshlrev_b32_e32 v14, 20, v14
	v_lshlrev_b32_e32 v15, 31, v15
	v_lshl_add_u32 v16, v16, 23, v17
	v_or3_b32 v14, v15, v16, v14
.LBB2_88:
	s_or_b64 exec, exec, s[6:7]
	s_movk_i32 s4, 0xff
	v_and_b32_sdwa v16, v7, s4 dst_sel:DWORD dst_unused:UNUSED_PAD src0_sel:WORD_1 src1_sel:DWORD
	s_movk_i32 s4, 0x7f
	v_cmp_lt_i16_e32 vcc, s4, v16
	s_mov_b64 s[4:5], 0
                                        ; implicit-def: $sgpr10
	s_and_saveexec_b64 s[6:7], vcc
	s_xor_b64 s[6:7], exec, s[6:7]
	s_cbranch_execnz .LBB2_345
; %bb.89:
	s_or_saveexec_b64 s[6:7], s[6:7]
	v_mov_b32_e32 v15, s10
	s_xor_b64 exec, exec, s[6:7]
	s_cbranch_execnz .LBB2_348
.LBB2_90:
	s_or_b64 exec, exec, s[6:7]
	s_and_saveexec_b64 s[6:7], s[4:5]
	s_cbranch_execz .LBB2_92
.LBB2_91:
	v_mov_b32_e32 v15, 7
	v_and_b32_sdwa v16, v7, v15 dst_sel:DWORD dst_unused:UNUSED_PAD src0_sel:WORD_1 src1_sel:DWORD
	v_ffbh_u32_e32 v18, v16
	v_mov_b32_e32 v17, 3
	v_min_u32_e32 v18, 32, v18
	v_lshrrev_b16_sdwa v17, v17, v7 dst_sel:DWORD dst_unused:UNUSED_PAD src0_sel:DWORD src1_sel:WORD_1
	v_subrev_u32_e32 v19, 28, v18
	v_and_b32_e32 v17, 15, v17
	v_lshlrev_b32_e32 v19, v19, v16
	v_sub_u32_e32 v18, 29, v18
	v_and_b32_e32 v19, 7, v19
	v_cmp_eq_u16_e32 vcc, 0, v17
	v_lshrrev_b16_sdwa v15, v15, v7 dst_sel:DWORD dst_unused:UNUSED_PAD src0_sel:DWORD src1_sel:WORD_1
	v_cndmask_b32_e32 v16, v16, v19, vcc
	v_cndmask_b32_e32 v17, v17, v18, vcc
	v_mov_b32_e32 v18, 0x3b800000
	v_lshlrev_b32_e32 v16, 20, v16
	v_lshlrev_b32_e32 v15, 31, v15
	v_lshl_add_u32 v17, v17, 23, v18
	v_or3_b32 v15, v15, v17, v16
.LBB2_92:
	s_or_b64 exec, exec, s[6:7]
	v_mov_b32_e32 v16, 8
	v_lshrrev_b16_sdwa v17, v16, v7 dst_sel:DWORD dst_unused:UNUSED_PAD src0_sel:DWORD src1_sel:WORD_1
	s_movk_i32 s4, 0x7f
	v_cmp_lt_i16_e32 vcc, s4, v17
	s_mov_b64 s[4:5], 0
                                        ; implicit-def: $sgpr10
	s_and_saveexec_b64 s[6:7], vcc
	s_xor_b64 s[6:7], exec, s[6:7]
	s_cbranch_execnz .LBB2_349
; %bb.93:
	s_or_saveexec_b64 s[6:7], s[6:7]
	v_mov_b32_e32 v16, s10
	s_xor_b64 exec, exec, s[6:7]
	s_cbranch_execnz .LBB2_352
.LBB2_94:
	s_or_b64 exec, exec, s[6:7]
	s_and_saveexec_b64 s[6:7], s[4:5]
	s_cbranch_execz .LBB2_96
.LBB2_95:
	v_mov_b32_e32 v16, 8
	v_lshrrev_b16_sdwa v16, v16, v7 dst_sel:DWORD dst_unused:UNUSED_PAD src0_sel:DWORD src1_sel:WORD_1
	v_and_b32_e32 v16, 7, v16
	v_mov_b32_e32 v17, 15
	v_mov_b32_e32 v18, 11
	v_lshrrev_b16_sdwa v17, v17, v7 dst_sel:DWORD dst_unused:UNUSED_PAD src0_sel:DWORD src1_sel:WORD_1
	v_lshrrev_b16_sdwa v7, v18, v7 dst_sel:DWORD dst_unused:UNUSED_PAD src0_sel:DWORD src1_sel:WORD_1
	v_ffbh_u32_e32 v18, v16
	v_min_u32_e32 v18, 32, v18
	v_subrev_u32_e32 v19, 28, v18
	v_and_b32_e32 v7, 15, v7
	v_lshlrev_b32_e32 v19, v19, v16
	v_sub_u32_e32 v18, 29, v18
	v_and_b32_e32 v19, 7, v19
	v_cmp_eq_u16_e32 vcc, 0, v7
	v_cndmask_b32_e32 v16, v16, v19, vcc
	v_cndmask_b32_e32 v7, v7, v18, vcc
	v_mov_b32_e32 v18, 0x3b800000
	v_lshlrev_b32_e32 v16, 20, v16
	v_lshlrev_b32_e32 v17, 31, v17
	v_lshl_add_u32 v7, v7, 23, v18
	v_or3_b32 v16, v17, v7, v16
.LBB2_96:
	s_or_b64 exec, exec, s[6:7]
	s_movk_i32 s4, 0x7f
	v_cmp_gt_i16_sdwa s[6:7], v8, s4 src0_sel:BYTE_0 src1_sel:DWORD
	s_mov_b64 s[4:5], 0
                                        ; implicit-def: $sgpr10
	s_and_saveexec_b64 s[8:9], s[6:7]
	s_xor_b64 s[6:7], exec, s[8:9]
	s_cbranch_execnz .LBB2_353
; %bb.97:
	s_or_saveexec_b64 s[6:7], s[6:7]
	v_mov_b32_e32 v7, s10
	s_xor_b64 exec, exec, s[6:7]
	s_cbranch_execnz .LBB2_356
.LBB2_98:
	s_or_b64 exec, exec, s[6:7]
	s_and_saveexec_b64 s[6:7], s[4:5]
	s_cbranch_execz .LBB2_100
.LBB2_99:
	v_and_b32_e32 v7, 7, v8
	v_ffbh_u32_e32 v19, v7
	v_min_u32_e32 v19, 32, v19
	v_lshrrev_b16_e32 v18, 3, v8
	v_subrev_u32_e32 v20, 28, v19
	v_and_b32_e32 v18, 15, v18
	v_lshlrev_b32_e32 v20, v20, v7
	v_sub_u32_e32 v19, 29, v19
	v_and_b32_e32 v20, 7, v20
	v_cmp_eq_u16_e32 vcc, 0, v18
	v_lshrrev_b16_e32 v17, 7, v8
	v_cndmask_b32_e32 v7, v7, v20, vcc
	v_cndmask_b32_e32 v18, v18, v19, vcc
	v_mov_b32_e32 v19, 0x3b800000
	v_lshlrev_b32_e32 v7, 20, v7
	v_lshlrev_b32_e32 v17, 31, v17
	v_lshl_add_u32 v18, v18, 23, v19
	v_or3_b32 v7, v17, v18, v7
.LBB2_100:
	s_or_b64 exec, exec, s[6:7]
	s_movk_i32 s4, 0x7f
	v_cmp_gt_i16_sdwa s[6:7], v8, s4 src0_sel:BYTE_1 src1_sel:DWORD
	s_mov_b64 s[4:5], 0
                                        ; implicit-def: $sgpr10
	s_and_saveexec_b64 s[8:9], s[6:7]
	s_xor_b64 s[6:7], exec, s[8:9]
	s_cbranch_execnz .LBB2_357
; %bb.101:
	s_or_saveexec_b64 s[6:7], s[6:7]
	v_mov_b32_e32 v17, s10
	s_xor_b64 exec, exec, s[6:7]
	s_cbranch_execnz .LBB2_360
.LBB2_102:
	s_or_b64 exec, exec, s[6:7]
	s_and_saveexec_b64 s[6:7], s[4:5]
	s_cbranch_execz .LBB2_104
.LBB2_103:
	v_mov_b32_e32 v17, 7
	v_and_b32_sdwa v17, v8, v17 dst_sel:DWORD dst_unused:UNUSED_PAD src0_sel:BYTE_1 src1_sel:DWORD
	v_ffbh_u32_e32 v20, v17
	v_min_u32_e32 v20, 32, v20
	v_lshrrev_b16_e32 v19, 11, v8
	v_subrev_u32_e32 v21, 28, v20
	v_and_b32_e32 v19, 15, v19
	v_lshlrev_b32_e32 v21, v21, v17
	v_sub_u32_e32 v20, 29, v20
	v_and_b32_e32 v21, 7, v21
	v_cmp_eq_u16_e32 vcc, 0, v19
	v_lshrrev_b16_e32 v18, 15, v8
	v_cndmask_b32_e32 v17, v17, v21, vcc
	v_cndmask_b32_e32 v19, v19, v20, vcc
	v_mov_b32_e32 v20, 0x3b800000
	v_lshlrev_b32_e32 v17, 20, v17
	v_lshlrev_b32_e32 v18, 31, v18
	v_lshl_add_u32 v19, v19, 23, v20
	v_or3_b32 v17, v18, v19, v17
.LBB2_104:
	s_or_b64 exec, exec, s[6:7]
	s_movk_i32 s4, 0xff
	v_and_b32_sdwa v19, v8, s4 dst_sel:DWORD dst_unused:UNUSED_PAD src0_sel:WORD_1 src1_sel:DWORD
	s_movk_i32 s4, 0x7f
	v_cmp_lt_i16_e32 vcc, s4, v19
	s_mov_b64 s[4:5], 0
                                        ; implicit-def: $sgpr10
	s_and_saveexec_b64 s[6:7], vcc
	s_xor_b64 s[6:7], exec, s[6:7]
	s_cbranch_execnz .LBB2_361
; %bb.105:
	s_or_saveexec_b64 s[6:7], s[6:7]
	v_mov_b32_e32 v18, s10
	s_xor_b64 exec, exec, s[6:7]
	s_cbranch_execnz .LBB2_364
.LBB2_106:
	s_or_b64 exec, exec, s[6:7]
	s_and_saveexec_b64 s[6:7], s[4:5]
	s_cbranch_execz .LBB2_108
.LBB2_107:
	v_mov_b32_e32 v18, 7
	v_and_b32_sdwa v19, v8, v18 dst_sel:DWORD dst_unused:UNUSED_PAD src0_sel:WORD_1 src1_sel:DWORD
	v_ffbh_u32_e32 v21, v19
	v_mov_b32_e32 v20, 3
	v_min_u32_e32 v21, 32, v21
	v_lshrrev_b16_sdwa v20, v20, v8 dst_sel:DWORD dst_unused:UNUSED_PAD src0_sel:DWORD src1_sel:WORD_1
	v_subrev_u32_e32 v22, 28, v21
	v_and_b32_e32 v20, 15, v20
	v_lshlrev_b32_e32 v22, v22, v19
	v_sub_u32_e32 v21, 29, v21
	v_and_b32_e32 v22, 7, v22
	v_cmp_eq_u16_e32 vcc, 0, v20
	v_lshrrev_b16_sdwa v18, v18, v8 dst_sel:DWORD dst_unused:UNUSED_PAD src0_sel:DWORD src1_sel:WORD_1
	v_cndmask_b32_e32 v19, v19, v22, vcc
	v_cndmask_b32_e32 v20, v20, v21, vcc
	v_mov_b32_e32 v21, 0x3b800000
	v_lshlrev_b32_e32 v19, 20, v19
	v_lshlrev_b32_e32 v18, 31, v18
	v_lshl_add_u32 v20, v20, 23, v21
	v_or3_b32 v18, v18, v20, v19
.LBB2_108:
	s_or_b64 exec, exec, s[6:7]
	v_mov_b32_e32 v19, 8
	v_lshrrev_b16_sdwa v20, v19, v8 dst_sel:DWORD dst_unused:UNUSED_PAD src0_sel:DWORD src1_sel:WORD_1
	s_movk_i32 s4, 0x7f
	v_cmp_lt_i16_e32 vcc, s4, v20
	s_mov_b64 s[4:5], 0
                                        ; implicit-def: $sgpr10
	s_and_saveexec_b64 s[6:7], vcc
	s_xor_b64 s[6:7], exec, s[6:7]
	s_cbranch_execnz .LBB2_365
; %bb.109:
	s_or_saveexec_b64 s[6:7], s[6:7]
	v_mov_b32_e32 v19, s10
	s_xor_b64 exec, exec, s[6:7]
	s_cbranch_execnz .LBB2_368
.LBB2_110:
	s_or_b64 exec, exec, s[6:7]
	s_and_saveexec_b64 s[6:7], s[4:5]
	s_cbranch_execz .LBB2_112
.LBB2_111:
	v_mov_b32_e32 v19, 8
	v_lshrrev_b16_sdwa v19, v19, v8 dst_sel:DWORD dst_unused:UNUSED_PAD src0_sel:DWORD src1_sel:WORD_1
	v_and_b32_e32 v19, 7, v19
	v_mov_b32_e32 v20, 15
	v_mov_b32_e32 v21, 11
	v_lshrrev_b16_sdwa v20, v20, v8 dst_sel:DWORD dst_unused:UNUSED_PAD src0_sel:DWORD src1_sel:WORD_1
	v_lshrrev_b16_sdwa v8, v21, v8 dst_sel:DWORD dst_unused:UNUSED_PAD src0_sel:DWORD src1_sel:WORD_1
	v_ffbh_u32_e32 v21, v19
	v_min_u32_e32 v21, 32, v21
	v_subrev_u32_e32 v22, 28, v21
	v_and_b32_e32 v8, 15, v8
	v_lshlrev_b32_e32 v22, v22, v19
	v_sub_u32_e32 v21, 29, v21
	v_and_b32_e32 v22, 7, v22
	v_cmp_eq_u16_e32 vcc, 0, v8
	v_cndmask_b32_e32 v19, v19, v22, vcc
	v_cndmask_b32_e32 v8, v8, v21, vcc
	v_mov_b32_e32 v21, 0x3b800000
	v_lshlrev_b32_e32 v19, 20, v19
	v_lshlrev_b32_e32 v20, 31, v20
	v_lshl_add_u32 v8, v8, 23, v21
	v_or3_b32 v19, v20, v8, v19
.LBB2_112:
	s_or_b64 exec, exec, s[6:7]
	s_movk_i32 s4, 0x7f
	v_cmp_gt_i16_sdwa s[6:7], v9, s4 src0_sel:BYTE_0 src1_sel:DWORD
	s_mov_b64 s[4:5], 0
                                        ; implicit-def: $sgpr10
	s_and_saveexec_b64 s[8:9], s[6:7]
	s_xor_b64 s[6:7], exec, s[8:9]
	s_cbranch_execnz .LBB2_369
; %bb.113:
	s_or_saveexec_b64 s[6:7], s[6:7]
	v_mov_b32_e32 v8, s10
	s_xor_b64 exec, exec, s[6:7]
	s_cbranch_execnz .LBB2_372
.LBB2_114:
	s_or_b64 exec, exec, s[6:7]
	s_and_saveexec_b64 s[6:7], s[4:5]
	s_cbranch_execz .LBB2_116
.LBB2_115:
	v_and_b32_e32 v8, 7, v9
	v_ffbh_u32_e32 v22, v8
	v_min_u32_e32 v22, 32, v22
	v_lshrrev_b16_e32 v21, 3, v9
	v_subrev_u32_e32 v23, 28, v22
	v_and_b32_e32 v21, 15, v21
	v_lshlrev_b32_e32 v23, v23, v8
	v_sub_u32_e32 v22, 29, v22
	v_and_b32_e32 v23, 7, v23
	v_cmp_eq_u16_e32 vcc, 0, v21
	v_lshrrev_b16_e32 v20, 7, v9
	v_cndmask_b32_e32 v8, v8, v23, vcc
	v_cndmask_b32_e32 v21, v21, v22, vcc
	v_mov_b32_e32 v22, 0x3b800000
	v_lshlrev_b32_e32 v8, 20, v8
	v_lshlrev_b32_e32 v20, 31, v20
	v_lshl_add_u32 v21, v21, 23, v22
	v_or3_b32 v8, v20, v21, v8
.LBB2_116:
	s_or_b64 exec, exec, s[6:7]
	s_movk_i32 s4, 0x7f
	v_cmp_gt_i16_sdwa s[6:7], v9, s4 src0_sel:BYTE_1 src1_sel:DWORD
	s_mov_b64 s[4:5], 0
                                        ; implicit-def: $sgpr10
	s_and_saveexec_b64 s[8:9], s[6:7]
	s_xor_b64 s[6:7], exec, s[8:9]
	s_cbranch_execnz .LBB2_373
; %bb.117:
	s_or_saveexec_b64 s[6:7], s[6:7]
	v_mov_b32_e32 v20, s10
	s_xor_b64 exec, exec, s[6:7]
	s_cbranch_execnz .LBB2_376
.LBB2_118:
	s_or_b64 exec, exec, s[6:7]
	s_and_saveexec_b64 s[6:7], s[4:5]
	s_cbranch_execz .LBB2_120
.LBB2_119:
	v_mov_b32_e32 v20, 7
	v_and_b32_sdwa v20, v9, v20 dst_sel:DWORD dst_unused:UNUSED_PAD src0_sel:BYTE_1 src1_sel:DWORD
	v_ffbh_u32_e32 v23, v20
	v_min_u32_e32 v23, 32, v23
	v_lshrrev_b16_e32 v22, 11, v9
	v_subrev_u32_e32 v24, 28, v23
	v_and_b32_e32 v22, 15, v22
	v_lshlrev_b32_e32 v24, v24, v20
	v_sub_u32_e32 v23, 29, v23
	v_and_b32_e32 v24, 7, v24
	v_cmp_eq_u16_e32 vcc, 0, v22
	v_lshrrev_b16_e32 v21, 15, v9
	v_cndmask_b32_e32 v20, v20, v24, vcc
	v_cndmask_b32_e32 v22, v22, v23, vcc
	v_mov_b32_e32 v23, 0x3b800000
	v_lshlrev_b32_e32 v20, 20, v20
	v_lshlrev_b32_e32 v21, 31, v21
	v_lshl_add_u32 v22, v22, 23, v23
	v_or3_b32 v20, v21, v22, v20
.LBB2_120:
	s_or_b64 exec, exec, s[6:7]
	s_movk_i32 s4, 0xff
	v_and_b32_sdwa v22, v9, s4 dst_sel:DWORD dst_unused:UNUSED_PAD src0_sel:WORD_1 src1_sel:DWORD
	s_movk_i32 s4, 0x7f
	v_cmp_lt_i16_e32 vcc, s4, v22
	s_mov_b64 s[4:5], 0
                                        ; implicit-def: $sgpr10
	s_and_saveexec_b64 s[6:7], vcc
	s_xor_b64 s[6:7], exec, s[6:7]
	s_cbranch_execnz .LBB2_377
; %bb.121:
	s_or_saveexec_b64 s[6:7], s[6:7]
	v_mov_b32_e32 v21, s10
	s_xor_b64 exec, exec, s[6:7]
	s_cbranch_execnz .LBB2_380
.LBB2_122:
	s_or_b64 exec, exec, s[6:7]
	s_and_saveexec_b64 s[6:7], s[4:5]
	s_cbranch_execz .LBB2_124
.LBB2_123:
	v_mov_b32_e32 v21, 7
	v_and_b32_sdwa v22, v9, v21 dst_sel:DWORD dst_unused:UNUSED_PAD src0_sel:WORD_1 src1_sel:DWORD
	v_ffbh_u32_e32 v24, v22
	v_mov_b32_e32 v23, 3
	v_min_u32_e32 v24, 32, v24
	v_lshrrev_b16_sdwa v23, v23, v9 dst_sel:DWORD dst_unused:UNUSED_PAD src0_sel:DWORD src1_sel:WORD_1
	v_subrev_u32_e32 v25, 28, v24
	v_and_b32_e32 v23, 15, v23
	v_lshlrev_b32_e32 v25, v25, v22
	v_sub_u32_e32 v24, 29, v24
	v_and_b32_e32 v25, 7, v25
	v_cmp_eq_u16_e32 vcc, 0, v23
	v_lshrrev_b16_sdwa v21, v21, v9 dst_sel:DWORD dst_unused:UNUSED_PAD src0_sel:DWORD src1_sel:WORD_1
	v_cndmask_b32_e32 v22, v22, v25, vcc
	v_cndmask_b32_e32 v23, v23, v24, vcc
	v_mov_b32_e32 v24, 0x3b800000
	v_lshlrev_b32_e32 v22, 20, v22
	v_lshlrev_b32_e32 v21, 31, v21
	v_lshl_add_u32 v23, v23, 23, v24
	v_or3_b32 v21, v21, v23, v22
.LBB2_124:
	s_or_b64 exec, exec, s[6:7]
	v_mov_b32_e32 v22, 8
	v_lshrrev_b16_sdwa v23, v22, v9 dst_sel:DWORD dst_unused:UNUSED_PAD src0_sel:DWORD src1_sel:WORD_1
	s_movk_i32 s4, 0x7f
	v_cmp_lt_i16_e32 vcc, s4, v23
	s_mov_b64 s[4:5], 0
                                        ; implicit-def: $sgpr10
	s_and_saveexec_b64 s[6:7], vcc
	s_xor_b64 s[6:7], exec, s[6:7]
	s_cbranch_execnz .LBB2_381
; %bb.125:
	s_or_saveexec_b64 s[6:7], s[6:7]
	v_mov_b32_e32 v22, s10
	s_xor_b64 exec, exec, s[6:7]
	s_cbranch_execnz .LBB2_384
.LBB2_126:
	s_or_b64 exec, exec, s[6:7]
	s_and_saveexec_b64 s[6:7], s[4:5]
	s_cbranch_execz .LBB2_128
.LBB2_127:
	v_mov_b32_e32 v22, 8
	v_lshrrev_b16_sdwa v22, v22, v9 dst_sel:DWORD dst_unused:UNUSED_PAD src0_sel:DWORD src1_sel:WORD_1
	v_and_b32_e32 v22, 7, v22
	v_mov_b32_e32 v23, 15
	v_mov_b32_e32 v24, 11
	v_lshrrev_b16_sdwa v23, v23, v9 dst_sel:DWORD dst_unused:UNUSED_PAD src0_sel:DWORD src1_sel:WORD_1
	v_lshrrev_b16_sdwa v9, v24, v9 dst_sel:DWORD dst_unused:UNUSED_PAD src0_sel:DWORD src1_sel:WORD_1
	v_ffbh_u32_e32 v24, v22
	v_min_u32_e32 v24, 32, v24
	v_subrev_u32_e32 v25, 28, v24
	v_and_b32_e32 v9, 15, v9
	v_lshlrev_b32_e32 v25, v25, v22
	v_sub_u32_e32 v24, 29, v24
	v_and_b32_e32 v25, 7, v25
	v_cmp_eq_u16_e32 vcc, 0, v9
	v_cndmask_b32_e32 v22, v22, v25, vcc
	v_cndmask_b32_e32 v9, v9, v24, vcc
	v_mov_b32_e32 v24, 0x3b800000
	v_lshlrev_b32_e32 v22, 20, v22
	v_lshlrev_b32_e32 v23, 31, v23
	v_lshl_add_u32 v9, v9, 23, v24
	v_or3_b32 v22, v23, v9, v22
.LBB2_128:
	s_or_b64 exec, exec, s[6:7]
	v_cvt_pkrtz_f16_f32 v24, v2, v3
	v_cvt_pkrtz_f16_f32 v25, v12, v13
	;; [unrolled: 1-line block ×8, first 2 shown]
	flat_store_dwordx4 v[4:5], v[24:27] offset:32
	flat_store_dwordx4 v[4:5], v[6:9] offset:48
	flat_load_dwordx2 v[2:3], v[0:1] offset:52
	flat_load_dwordx2 v[12:13], v[0:1] offset:16
	s_nop 0
	flat_load_dword v9, v[0:1] offset:44
	flat_load_dwordx3 v[6:8], v[0:1]
	s_movk_i32 s4, 0x7f
                                        ; implicit-def: $sgpr10
	s_waitcnt vmcnt(0) lgkmcnt(0)
	v_add_u32_e32 v3, 32, v3
	v_ashrrev_i32_e32 v14, 31, v3
	v_sub_u32_e32 v9, v13, v9
	v_ashrrev_i32_e32 v13, 31, v12
	v_sub_u32_e32 v8, v12, v8
	v_lshrrev_b32_e32 v13, 28, v13
	v_lshl_add_u32 v6, v8, 8, v6
	v_lshrrev_b32_e32 v8, 28, v14
	v_add_u32_e32 v13, v12, v13
	v_sub_u32_e32 v2, v6, v2
	v_add_u32_e32 v6, v3, v8
	v_and_b32_e32 v8, 0xffffff0, v13
	v_lshrrev_b32_e32 v13, 4, v6
	v_and_b32_e32 v6, -16, v6
	v_sub_u32_e32 v8, v12, v8
	v_sub_u32_e32 v3, v3, v6
	v_add_u32_e32 v6, v9, v13
	v_xor_b32_e32 v6, v6, v8
	v_sub_u32_e32 v6, v6, v7
	v_lshlrev_b32_e32 v6, 4, v6
	v_add3_u32 v2, v2, v3, v6
	v_ashrrev_i32_e32 v3, 31, v2
	v_add_co_u32_e32 v2, vcc, v10, v2
	v_addc_co_u32_e32 v3, vcc, v11, v3, vcc
	flat_load_dwordx4 v[6:9], v[2:3]
	s_waitcnt vmcnt(0) lgkmcnt(0)
	v_cmp_gt_i16_sdwa s[6:7], v6, s4 src0_sel:BYTE_0 src1_sel:DWORD
	s_mov_b64 s[4:5], 0
	s_and_saveexec_b64 s[8:9], s[6:7]
	s_xor_b64 s[6:7], exec, s[8:9]
	s_cbranch_execnz .LBB2_385
; %bb.129:
	s_or_saveexec_b64 s[6:7], s[6:7]
	v_mov_b32_e32 v2, s10
	s_xor_b64 exec, exec, s[6:7]
	s_cbranch_execnz .LBB2_388
.LBB2_130:
	s_or_b64 exec, exec, s[6:7]
	s_and_saveexec_b64 s[6:7], s[4:5]
	s_cbranch_execz .LBB2_132
.LBB2_131:
	v_and_b32_e32 v2, 7, v6
	v_ffbh_u32_e32 v13, v2
	v_min_u32_e32 v13, 32, v13
	v_lshrrev_b16_e32 v12, 3, v6
	v_subrev_u32_e32 v14, 28, v13
	v_and_b32_e32 v12, 15, v12
	v_lshlrev_b32_e32 v14, v14, v2
	v_sub_u32_e32 v13, 29, v13
	v_and_b32_e32 v14, 7, v14
	v_cmp_eq_u16_e32 vcc, 0, v12
	v_lshrrev_b16_e32 v3, 7, v6
	v_cndmask_b32_e32 v2, v2, v14, vcc
	v_cndmask_b32_e32 v12, v12, v13, vcc
	v_mov_b32_e32 v13, 0x3b800000
	v_lshlrev_b32_e32 v2, 20, v2
	v_lshlrev_b32_e32 v3, 31, v3
	v_lshl_add_u32 v12, v12, 23, v13
	v_or3_b32 v2, v3, v12, v2
.LBB2_132:
	s_or_b64 exec, exec, s[6:7]
	s_movk_i32 s4, 0x7f
	v_cmp_gt_i16_sdwa s[6:7], v6, s4 src0_sel:BYTE_1 src1_sel:DWORD
	s_mov_b64 s[4:5], 0
                                        ; implicit-def: $sgpr10
	s_and_saveexec_b64 s[8:9], s[6:7]
	s_xor_b64 s[6:7], exec, s[8:9]
	s_cbranch_execnz .LBB2_389
; %bb.133:
	s_or_saveexec_b64 s[6:7], s[6:7]
	v_mov_b32_e32 v3, s10
	s_xor_b64 exec, exec, s[6:7]
	s_cbranch_execnz .LBB2_392
.LBB2_134:
	s_or_b64 exec, exec, s[6:7]
	s_and_saveexec_b64 s[6:7], s[4:5]
	s_cbranch_execz .LBB2_136
.LBB2_135:
	v_mov_b32_e32 v3, 7
	v_and_b32_sdwa v3, v6, v3 dst_sel:DWORD dst_unused:UNUSED_PAD src0_sel:BYTE_1 src1_sel:DWORD
	v_ffbh_u32_e32 v14, v3
	v_min_u32_e32 v14, 32, v14
	v_lshrrev_b16_e32 v13, 11, v6
	v_subrev_u32_e32 v15, 28, v14
	v_and_b32_e32 v13, 15, v13
	v_lshlrev_b32_e32 v15, v15, v3
	v_sub_u32_e32 v14, 29, v14
	v_and_b32_e32 v15, 7, v15
	v_cmp_eq_u16_e32 vcc, 0, v13
	v_lshrrev_b16_e32 v12, 15, v6
	v_cndmask_b32_e32 v3, v3, v15, vcc
	v_cndmask_b32_e32 v13, v13, v14, vcc
	v_mov_b32_e32 v14, 0x3b800000
	v_lshlrev_b32_e32 v3, 20, v3
	v_lshlrev_b32_e32 v12, 31, v12
	v_lshl_add_u32 v13, v13, 23, v14
	v_or3_b32 v3, v12, v13, v3
.LBB2_136:
	s_or_b64 exec, exec, s[6:7]
	s_movk_i32 s4, 0xff
	v_and_b32_sdwa v13, v6, s4 dst_sel:DWORD dst_unused:UNUSED_PAD src0_sel:WORD_1 src1_sel:DWORD
	s_movk_i32 s4, 0x7f
	v_cmp_lt_i16_e32 vcc, s4, v13
	s_mov_b64 s[4:5], 0
                                        ; implicit-def: $sgpr10
	s_and_saveexec_b64 s[6:7], vcc
	s_xor_b64 s[6:7], exec, s[6:7]
	s_cbranch_execnz .LBB2_393
; %bb.137:
	s_or_saveexec_b64 s[6:7], s[6:7]
	v_mov_b32_e32 v12, s10
	s_xor_b64 exec, exec, s[6:7]
	s_cbranch_execnz .LBB2_396
.LBB2_138:
	s_or_b64 exec, exec, s[6:7]
	s_and_saveexec_b64 s[6:7], s[4:5]
	s_cbranch_execz .LBB2_140
.LBB2_139:
	v_mov_b32_e32 v12, 7
	v_and_b32_sdwa v13, v6, v12 dst_sel:DWORD dst_unused:UNUSED_PAD src0_sel:WORD_1 src1_sel:DWORD
	v_ffbh_u32_e32 v15, v13
	v_mov_b32_e32 v14, 3
	v_min_u32_e32 v15, 32, v15
	v_lshrrev_b16_sdwa v14, v14, v6 dst_sel:DWORD dst_unused:UNUSED_PAD src0_sel:DWORD src1_sel:WORD_1
	v_subrev_u32_e32 v16, 28, v15
	v_and_b32_e32 v14, 15, v14
	v_lshlrev_b32_e32 v16, v16, v13
	v_sub_u32_e32 v15, 29, v15
	v_and_b32_e32 v16, 7, v16
	v_cmp_eq_u16_e32 vcc, 0, v14
	v_lshrrev_b16_sdwa v12, v12, v6 dst_sel:DWORD dst_unused:UNUSED_PAD src0_sel:DWORD src1_sel:WORD_1
	v_cndmask_b32_e32 v13, v13, v16, vcc
	v_cndmask_b32_e32 v14, v14, v15, vcc
	v_mov_b32_e32 v15, 0x3b800000
	v_lshlrev_b32_e32 v13, 20, v13
	v_lshlrev_b32_e32 v12, 31, v12
	v_lshl_add_u32 v14, v14, 23, v15
	v_or3_b32 v12, v12, v14, v13
.LBB2_140:
	s_or_b64 exec, exec, s[6:7]
	v_mov_b32_e32 v13, 8
	v_lshrrev_b16_sdwa v14, v13, v6 dst_sel:DWORD dst_unused:UNUSED_PAD src0_sel:DWORD src1_sel:WORD_1
	s_movk_i32 s4, 0x7f
	v_cmp_lt_i16_e32 vcc, s4, v14
	s_mov_b64 s[4:5], 0
                                        ; implicit-def: $sgpr10
	s_and_saveexec_b64 s[6:7], vcc
	s_xor_b64 s[6:7], exec, s[6:7]
	s_cbranch_execnz .LBB2_397
; %bb.141:
	s_or_saveexec_b64 s[6:7], s[6:7]
	v_mov_b32_e32 v13, s10
	s_xor_b64 exec, exec, s[6:7]
	s_cbranch_execnz .LBB2_400
.LBB2_142:
	s_or_b64 exec, exec, s[6:7]
	s_and_saveexec_b64 s[6:7], s[4:5]
	s_cbranch_execz .LBB2_144
.LBB2_143:
	v_mov_b32_e32 v13, 8
	v_lshrrev_b16_sdwa v13, v13, v6 dst_sel:DWORD dst_unused:UNUSED_PAD src0_sel:DWORD src1_sel:WORD_1
	v_and_b32_e32 v13, 7, v13
	v_mov_b32_e32 v14, 15
	v_mov_b32_e32 v15, 11
	v_lshrrev_b16_sdwa v14, v14, v6 dst_sel:DWORD dst_unused:UNUSED_PAD src0_sel:DWORD src1_sel:WORD_1
	v_lshrrev_b16_sdwa v6, v15, v6 dst_sel:DWORD dst_unused:UNUSED_PAD src0_sel:DWORD src1_sel:WORD_1
	v_ffbh_u32_e32 v15, v13
	v_min_u32_e32 v15, 32, v15
	v_subrev_u32_e32 v16, 28, v15
	v_and_b32_e32 v6, 15, v6
	v_lshlrev_b32_e32 v16, v16, v13
	v_sub_u32_e32 v15, 29, v15
	v_and_b32_e32 v16, 7, v16
	v_cmp_eq_u16_e32 vcc, 0, v6
	v_cndmask_b32_e32 v13, v13, v16, vcc
	v_cndmask_b32_e32 v6, v6, v15, vcc
	v_mov_b32_e32 v15, 0x3b800000
	v_lshlrev_b32_e32 v13, 20, v13
	v_lshlrev_b32_e32 v14, 31, v14
	v_lshl_add_u32 v6, v6, 23, v15
	v_or3_b32 v13, v14, v6, v13
.LBB2_144:
	s_or_b64 exec, exec, s[6:7]
	s_movk_i32 s4, 0x7f
	v_cmp_gt_i16_sdwa s[6:7], v7, s4 src0_sel:BYTE_0 src1_sel:DWORD
	s_mov_b64 s[4:5], 0
                                        ; implicit-def: $sgpr10
	s_and_saveexec_b64 s[8:9], s[6:7]
	s_xor_b64 s[6:7], exec, s[8:9]
	s_cbranch_execnz .LBB2_401
; %bb.145:
	s_or_saveexec_b64 s[6:7], s[6:7]
	v_mov_b32_e32 v6, s10
	s_xor_b64 exec, exec, s[6:7]
	s_cbranch_execnz .LBB2_404
.LBB2_146:
	s_or_b64 exec, exec, s[6:7]
	s_and_saveexec_b64 s[6:7], s[4:5]
	s_cbranch_execz .LBB2_148
.LBB2_147:
	v_and_b32_e32 v6, 7, v7
	v_ffbh_u32_e32 v16, v6
	v_min_u32_e32 v16, 32, v16
	v_lshrrev_b16_e32 v15, 3, v7
	v_subrev_u32_e32 v17, 28, v16
	v_and_b32_e32 v15, 15, v15
	v_lshlrev_b32_e32 v17, v17, v6
	v_sub_u32_e32 v16, 29, v16
	v_and_b32_e32 v17, 7, v17
	v_cmp_eq_u16_e32 vcc, 0, v15
	v_lshrrev_b16_e32 v14, 7, v7
	v_cndmask_b32_e32 v6, v6, v17, vcc
	v_cndmask_b32_e32 v15, v15, v16, vcc
	v_mov_b32_e32 v16, 0x3b800000
	v_lshlrev_b32_e32 v6, 20, v6
	v_lshlrev_b32_e32 v14, 31, v14
	v_lshl_add_u32 v15, v15, 23, v16
	v_or3_b32 v6, v14, v15, v6
.LBB2_148:
	s_or_b64 exec, exec, s[6:7]
	s_movk_i32 s4, 0x7f
	v_cmp_gt_i16_sdwa s[6:7], v7, s4 src0_sel:BYTE_1 src1_sel:DWORD
	s_mov_b64 s[4:5], 0
                                        ; implicit-def: $sgpr10
	s_and_saveexec_b64 s[8:9], s[6:7]
	s_xor_b64 s[6:7], exec, s[8:9]
	s_cbranch_execnz .LBB2_405
; %bb.149:
	s_or_saveexec_b64 s[6:7], s[6:7]
	v_mov_b32_e32 v14, s10
	s_xor_b64 exec, exec, s[6:7]
	s_cbranch_execnz .LBB2_408
.LBB2_150:
	s_or_b64 exec, exec, s[6:7]
	s_and_saveexec_b64 s[6:7], s[4:5]
	s_cbranch_execz .LBB2_152
.LBB2_151:
	v_mov_b32_e32 v14, 7
	v_and_b32_sdwa v14, v7, v14 dst_sel:DWORD dst_unused:UNUSED_PAD src0_sel:BYTE_1 src1_sel:DWORD
	v_ffbh_u32_e32 v17, v14
	v_min_u32_e32 v17, 32, v17
	v_lshrrev_b16_e32 v16, 11, v7
	v_subrev_u32_e32 v18, 28, v17
	v_and_b32_e32 v16, 15, v16
	v_lshlrev_b32_e32 v18, v18, v14
	v_sub_u32_e32 v17, 29, v17
	v_and_b32_e32 v18, 7, v18
	v_cmp_eq_u16_e32 vcc, 0, v16
	v_lshrrev_b16_e32 v15, 15, v7
	v_cndmask_b32_e32 v14, v14, v18, vcc
	v_cndmask_b32_e32 v16, v16, v17, vcc
	v_mov_b32_e32 v17, 0x3b800000
	v_lshlrev_b32_e32 v14, 20, v14
	v_lshlrev_b32_e32 v15, 31, v15
	v_lshl_add_u32 v16, v16, 23, v17
	v_or3_b32 v14, v15, v16, v14
.LBB2_152:
	s_or_b64 exec, exec, s[6:7]
	s_movk_i32 s4, 0xff
	v_and_b32_sdwa v16, v7, s4 dst_sel:DWORD dst_unused:UNUSED_PAD src0_sel:WORD_1 src1_sel:DWORD
	s_movk_i32 s4, 0x7f
	v_cmp_lt_i16_e32 vcc, s4, v16
	s_mov_b64 s[4:5], 0
                                        ; implicit-def: $sgpr10
	s_and_saveexec_b64 s[6:7], vcc
	s_xor_b64 s[6:7], exec, s[6:7]
	s_cbranch_execnz .LBB2_409
; %bb.153:
	s_or_saveexec_b64 s[6:7], s[6:7]
	v_mov_b32_e32 v15, s10
	s_xor_b64 exec, exec, s[6:7]
	s_cbranch_execnz .LBB2_412
.LBB2_154:
	s_or_b64 exec, exec, s[6:7]
	s_and_saveexec_b64 s[6:7], s[4:5]
	s_cbranch_execz .LBB2_156
.LBB2_155:
	v_mov_b32_e32 v15, 7
	v_and_b32_sdwa v16, v7, v15 dst_sel:DWORD dst_unused:UNUSED_PAD src0_sel:WORD_1 src1_sel:DWORD
	v_ffbh_u32_e32 v18, v16
	v_mov_b32_e32 v17, 3
	v_min_u32_e32 v18, 32, v18
	v_lshrrev_b16_sdwa v17, v17, v7 dst_sel:DWORD dst_unused:UNUSED_PAD src0_sel:DWORD src1_sel:WORD_1
	v_subrev_u32_e32 v19, 28, v18
	v_and_b32_e32 v17, 15, v17
	v_lshlrev_b32_e32 v19, v19, v16
	v_sub_u32_e32 v18, 29, v18
	v_and_b32_e32 v19, 7, v19
	v_cmp_eq_u16_e32 vcc, 0, v17
	v_lshrrev_b16_sdwa v15, v15, v7 dst_sel:DWORD dst_unused:UNUSED_PAD src0_sel:DWORD src1_sel:WORD_1
	v_cndmask_b32_e32 v16, v16, v19, vcc
	v_cndmask_b32_e32 v17, v17, v18, vcc
	v_mov_b32_e32 v18, 0x3b800000
	v_lshlrev_b32_e32 v16, 20, v16
	v_lshlrev_b32_e32 v15, 31, v15
	v_lshl_add_u32 v17, v17, 23, v18
	v_or3_b32 v15, v15, v17, v16
.LBB2_156:
	s_or_b64 exec, exec, s[6:7]
	v_mov_b32_e32 v16, 8
	v_lshrrev_b16_sdwa v17, v16, v7 dst_sel:DWORD dst_unused:UNUSED_PAD src0_sel:DWORD src1_sel:WORD_1
	s_movk_i32 s4, 0x7f
	v_cmp_lt_i16_e32 vcc, s4, v17
	s_mov_b64 s[4:5], 0
                                        ; implicit-def: $sgpr10
	s_and_saveexec_b64 s[6:7], vcc
	s_xor_b64 s[6:7], exec, s[6:7]
	s_cbranch_execnz .LBB2_413
; %bb.157:
	s_or_saveexec_b64 s[6:7], s[6:7]
	v_mov_b32_e32 v16, s10
	s_xor_b64 exec, exec, s[6:7]
	s_cbranch_execnz .LBB2_416
.LBB2_158:
	s_or_b64 exec, exec, s[6:7]
	s_and_saveexec_b64 s[6:7], s[4:5]
	s_cbranch_execz .LBB2_160
.LBB2_159:
	v_mov_b32_e32 v16, 8
	v_lshrrev_b16_sdwa v16, v16, v7 dst_sel:DWORD dst_unused:UNUSED_PAD src0_sel:DWORD src1_sel:WORD_1
	v_and_b32_e32 v16, 7, v16
	v_mov_b32_e32 v17, 15
	v_mov_b32_e32 v18, 11
	v_lshrrev_b16_sdwa v17, v17, v7 dst_sel:DWORD dst_unused:UNUSED_PAD src0_sel:DWORD src1_sel:WORD_1
	v_lshrrev_b16_sdwa v7, v18, v7 dst_sel:DWORD dst_unused:UNUSED_PAD src0_sel:DWORD src1_sel:WORD_1
	v_ffbh_u32_e32 v18, v16
	v_min_u32_e32 v18, 32, v18
	v_subrev_u32_e32 v19, 28, v18
	v_and_b32_e32 v7, 15, v7
	v_lshlrev_b32_e32 v19, v19, v16
	v_sub_u32_e32 v18, 29, v18
	v_and_b32_e32 v19, 7, v19
	v_cmp_eq_u16_e32 vcc, 0, v7
	v_cndmask_b32_e32 v16, v16, v19, vcc
	v_cndmask_b32_e32 v7, v7, v18, vcc
	v_mov_b32_e32 v18, 0x3b800000
	v_lshlrev_b32_e32 v16, 20, v16
	v_lshlrev_b32_e32 v17, 31, v17
	v_lshl_add_u32 v7, v7, 23, v18
	v_or3_b32 v16, v17, v7, v16
.LBB2_160:
	s_or_b64 exec, exec, s[6:7]
	s_movk_i32 s4, 0x7f
	v_cmp_gt_i16_sdwa s[6:7], v8, s4 src0_sel:BYTE_0 src1_sel:DWORD
	s_mov_b64 s[4:5], 0
                                        ; implicit-def: $sgpr10
	s_and_saveexec_b64 s[8:9], s[6:7]
	s_xor_b64 s[6:7], exec, s[8:9]
	s_cbranch_execnz .LBB2_417
; %bb.161:
	s_or_saveexec_b64 s[6:7], s[6:7]
	v_mov_b32_e32 v7, s10
	s_xor_b64 exec, exec, s[6:7]
	s_cbranch_execnz .LBB2_420
.LBB2_162:
	s_or_b64 exec, exec, s[6:7]
	s_and_saveexec_b64 s[6:7], s[4:5]
	s_cbranch_execz .LBB2_164
.LBB2_163:
	v_and_b32_e32 v7, 7, v8
	v_ffbh_u32_e32 v19, v7
	v_min_u32_e32 v19, 32, v19
	v_lshrrev_b16_e32 v18, 3, v8
	v_subrev_u32_e32 v20, 28, v19
	v_and_b32_e32 v18, 15, v18
	v_lshlrev_b32_e32 v20, v20, v7
	v_sub_u32_e32 v19, 29, v19
	v_and_b32_e32 v20, 7, v20
	v_cmp_eq_u16_e32 vcc, 0, v18
	v_lshrrev_b16_e32 v17, 7, v8
	v_cndmask_b32_e32 v7, v7, v20, vcc
	v_cndmask_b32_e32 v18, v18, v19, vcc
	v_mov_b32_e32 v19, 0x3b800000
	v_lshlrev_b32_e32 v7, 20, v7
	v_lshlrev_b32_e32 v17, 31, v17
	v_lshl_add_u32 v18, v18, 23, v19
	v_or3_b32 v7, v17, v18, v7
.LBB2_164:
	s_or_b64 exec, exec, s[6:7]
	s_movk_i32 s4, 0x7f
	v_cmp_gt_i16_sdwa s[6:7], v8, s4 src0_sel:BYTE_1 src1_sel:DWORD
	s_mov_b64 s[4:5], 0
                                        ; implicit-def: $sgpr10
	s_and_saveexec_b64 s[8:9], s[6:7]
	s_xor_b64 s[6:7], exec, s[8:9]
	s_cbranch_execnz .LBB2_421
; %bb.165:
	s_or_saveexec_b64 s[6:7], s[6:7]
	v_mov_b32_e32 v17, s10
	s_xor_b64 exec, exec, s[6:7]
	s_cbranch_execnz .LBB2_424
.LBB2_166:
	s_or_b64 exec, exec, s[6:7]
	s_and_saveexec_b64 s[6:7], s[4:5]
	s_cbranch_execz .LBB2_168
.LBB2_167:
	v_mov_b32_e32 v17, 7
	v_and_b32_sdwa v17, v8, v17 dst_sel:DWORD dst_unused:UNUSED_PAD src0_sel:BYTE_1 src1_sel:DWORD
	v_ffbh_u32_e32 v20, v17
	v_min_u32_e32 v20, 32, v20
	v_lshrrev_b16_e32 v19, 11, v8
	v_subrev_u32_e32 v21, 28, v20
	v_and_b32_e32 v19, 15, v19
	v_lshlrev_b32_e32 v21, v21, v17
	v_sub_u32_e32 v20, 29, v20
	v_and_b32_e32 v21, 7, v21
	v_cmp_eq_u16_e32 vcc, 0, v19
	v_lshrrev_b16_e32 v18, 15, v8
	v_cndmask_b32_e32 v17, v17, v21, vcc
	v_cndmask_b32_e32 v19, v19, v20, vcc
	v_mov_b32_e32 v20, 0x3b800000
	v_lshlrev_b32_e32 v17, 20, v17
	v_lshlrev_b32_e32 v18, 31, v18
	v_lshl_add_u32 v19, v19, 23, v20
	v_or3_b32 v17, v18, v19, v17
.LBB2_168:
	s_or_b64 exec, exec, s[6:7]
	s_movk_i32 s4, 0xff
	v_and_b32_sdwa v19, v8, s4 dst_sel:DWORD dst_unused:UNUSED_PAD src0_sel:WORD_1 src1_sel:DWORD
	s_movk_i32 s4, 0x7f
	v_cmp_lt_i16_e32 vcc, s4, v19
	s_mov_b64 s[4:5], 0
                                        ; implicit-def: $sgpr10
	s_and_saveexec_b64 s[6:7], vcc
	s_xor_b64 s[6:7], exec, s[6:7]
	s_cbranch_execnz .LBB2_425
; %bb.169:
	s_or_saveexec_b64 s[6:7], s[6:7]
	v_mov_b32_e32 v18, s10
	s_xor_b64 exec, exec, s[6:7]
	s_cbranch_execnz .LBB2_428
.LBB2_170:
	s_or_b64 exec, exec, s[6:7]
	s_and_saveexec_b64 s[6:7], s[4:5]
	s_cbranch_execz .LBB2_172
.LBB2_171:
	v_mov_b32_e32 v18, 7
	v_and_b32_sdwa v19, v8, v18 dst_sel:DWORD dst_unused:UNUSED_PAD src0_sel:WORD_1 src1_sel:DWORD
	v_ffbh_u32_e32 v21, v19
	v_mov_b32_e32 v20, 3
	v_min_u32_e32 v21, 32, v21
	v_lshrrev_b16_sdwa v20, v20, v8 dst_sel:DWORD dst_unused:UNUSED_PAD src0_sel:DWORD src1_sel:WORD_1
	v_subrev_u32_e32 v22, 28, v21
	v_and_b32_e32 v20, 15, v20
	v_lshlrev_b32_e32 v22, v22, v19
	v_sub_u32_e32 v21, 29, v21
	v_and_b32_e32 v22, 7, v22
	v_cmp_eq_u16_e32 vcc, 0, v20
	v_lshrrev_b16_sdwa v18, v18, v8 dst_sel:DWORD dst_unused:UNUSED_PAD src0_sel:DWORD src1_sel:WORD_1
	v_cndmask_b32_e32 v19, v19, v22, vcc
	v_cndmask_b32_e32 v20, v20, v21, vcc
	v_mov_b32_e32 v21, 0x3b800000
	v_lshlrev_b32_e32 v19, 20, v19
	v_lshlrev_b32_e32 v18, 31, v18
	v_lshl_add_u32 v20, v20, 23, v21
	v_or3_b32 v18, v18, v20, v19
.LBB2_172:
	s_or_b64 exec, exec, s[6:7]
	v_mov_b32_e32 v19, 8
	v_lshrrev_b16_sdwa v20, v19, v8 dst_sel:DWORD dst_unused:UNUSED_PAD src0_sel:DWORD src1_sel:WORD_1
	s_movk_i32 s4, 0x7f
	v_cmp_lt_i16_e32 vcc, s4, v20
	s_mov_b64 s[4:5], 0
                                        ; implicit-def: $sgpr10
	s_and_saveexec_b64 s[6:7], vcc
	s_xor_b64 s[6:7], exec, s[6:7]
	s_cbranch_execnz .LBB2_429
; %bb.173:
	s_or_saveexec_b64 s[6:7], s[6:7]
	v_mov_b32_e32 v19, s10
	s_xor_b64 exec, exec, s[6:7]
	s_cbranch_execnz .LBB2_432
.LBB2_174:
	s_or_b64 exec, exec, s[6:7]
	s_and_saveexec_b64 s[6:7], s[4:5]
	s_cbranch_execz .LBB2_176
.LBB2_175:
	v_mov_b32_e32 v19, 8
	v_lshrrev_b16_sdwa v19, v19, v8 dst_sel:DWORD dst_unused:UNUSED_PAD src0_sel:DWORD src1_sel:WORD_1
	v_and_b32_e32 v19, 7, v19
	v_mov_b32_e32 v20, 15
	v_mov_b32_e32 v21, 11
	v_lshrrev_b16_sdwa v20, v20, v8 dst_sel:DWORD dst_unused:UNUSED_PAD src0_sel:DWORD src1_sel:WORD_1
	v_lshrrev_b16_sdwa v8, v21, v8 dst_sel:DWORD dst_unused:UNUSED_PAD src0_sel:DWORD src1_sel:WORD_1
	v_ffbh_u32_e32 v21, v19
	v_min_u32_e32 v21, 32, v21
	v_subrev_u32_e32 v22, 28, v21
	v_and_b32_e32 v8, 15, v8
	v_lshlrev_b32_e32 v22, v22, v19
	v_sub_u32_e32 v21, 29, v21
	v_and_b32_e32 v22, 7, v22
	v_cmp_eq_u16_e32 vcc, 0, v8
	v_cndmask_b32_e32 v19, v19, v22, vcc
	v_cndmask_b32_e32 v8, v8, v21, vcc
	v_mov_b32_e32 v21, 0x3b800000
	v_lshlrev_b32_e32 v19, 20, v19
	v_lshlrev_b32_e32 v20, 31, v20
	v_lshl_add_u32 v8, v8, 23, v21
	v_or3_b32 v19, v20, v8, v19
.LBB2_176:
	s_or_b64 exec, exec, s[6:7]
	s_movk_i32 s4, 0x7f
	v_cmp_gt_i16_sdwa s[6:7], v9, s4 src0_sel:BYTE_0 src1_sel:DWORD
	s_mov_b64 s[4:5], 0
                                        ; implicit-def: $sgpr10
	s_and_saveexec_b64 s[8:9], s[6:7]
	s_xor_b64 s[6:7], exec, s[8:9]
	s_cbranch_execnz .LBB2_433
; %bb.177:
	s_or_saveexec_b64 s[6:7], s[6:7]
	v_mov_b32_e32 v8, s10
	s_xor_b64 exec, exec, s[6:7]
	s_cbranch_execnz .LBB2_436
.LBB2_178:
	s_or_b64 exec, exec, s[6:7]
	s_and_saveexec_b64 s[6:7], s[4:5]
	s_cbranch_execz .LBB2_180
.LBB2_179:
	v_and_b32_e32 v8, 7, v9
	v_ffbh_u32_e32 v22, v8
	v_min_u32_e32 v22, 32, v22
	v_lshrrev_b16_e32 v21, 3, v9
	v_subrev_u32_e32 v23, 28, v22
	v_and_b32_e32 v21, 15, v21
	v_lshlrev_b32_e32 v23, v23, v8
	v_sub_u32_e32 v22, 29, v22
	v_and_b32_e32 v23, 7, v23
	v_cmp_eq_u16_e32 vcc, 0, v21
	v_lshrrev_b16_e32 v20, 7, v9
	v_cndmask_b32_e32 v8, v8, v23, vcc
	v_cndmask_b32_e32 v21, v21, v22, vcc
	v_mov_b32_e32 v22, 0x3b800000
	v_lshlrev_b32_e32 v8, 20, v8
	v_lshlrev_b32_e32 v20, 31, v20
	v_lshl_add_u32 v21, v21, 23, v22
	v_or3_b32 v8, v20, v21, v8
.LBB2_180:
	s_or_b64 exec, exec, s[6:7]
	s_movk_i32 s4, 0x7f
	v_cmp_gt_i16_sdwa s[6:7], v9, s4 src0_sel:BYTE_1 src1_sel:DWORD
	s_mov_b64 s[4:5], 0
                                        ; implicit-def: $sgpr10
	s_and_saveexec_b64 s[8:9], s[6:7]
	s_xor_b64 s[6:7], exec, s[8:9]
	s_cbranch_execnz .LBB2_437
; %bb.181:
	s_or_saveexec_b64 s[6:7], s[6:7]
	v_mov_b32_e32 v20, s10
	s_xor_b64 exec, exec, s[6:7]
	s_cbranch_execnz .LBB2_440
.LBB2_182:
	s_or_b64 exec, exec, s[6:7]
	s_and_saveexec_b64 s[6:7], s[4:5]
	s_cbranch_execz .LBB2_184
.LBB2_183:
	v_mov_b32_e32 v20, 7
	v_and_b32_sdwa v20, v9, v20 dst_sel:DWORD dst_unused:UNUSED_PAD src0_sel:BYTE_1 src1_sel:DWORD
	v_ffbh_u32_e32 v23, v20
	v_min_u32_e32 v23, 32, v23
	v_lshrrev_b16_e32 v22, 11, v9
	v_subrev_u32_e32 v24, 28, v23
	v_and_b32_e32 v22, 15, v22
	v_lshlrev_b32_e32 v24, v24, v20
	v_sub_u32_e32 v23, 29, v23
	v_and_b32_e32 v24, 7, v24
	v_cmp_eq_u16_e32 vcc, 0, v22
	v_lshrrev_b16_e32 v21, 15, v9
	v_cndmask_b32_e32 v20, v20, v24, vcc
	v_cndmask_b32_e32 v22, v22, v23, vcc
	v_mov_b32_e32 v23, 0x3b800000
	v_lshlrev_b32_e32 v20, 20, v20
	v_lshlrev_b32_e32 v21, 31, v21
	v_lshl_add_u32 v22, v22, 23, v23
	v_or3_b32 v20, v21, v22, v20
.LBB2_184:
	s_or_b64 exec, exec, s[6:7]
	s_movk_i32 s4, 0xff
	v_and_b32_sdwa v22, v9, s4 dst_sel:DWORD dst_unused:UNUSED_PAD src0_sel:WORD_1 src1_sel:DWORD
	s_movk_i32 s4, 0x7f
	v_cmp_lt_i16_e32 vcc, s4, v22
	s_mov_b64 s[4:5], 0
                                        ; implicit-def: $sgpr10
	s_and_saveexec_b64 s[6:7], vcc
	s_xor_b64 s[6:7], exec, s[6:7]
	s_cbranch_execnz .LBB2_441
; %bb.185:
	s_or_saveexec_b64 s[6:7], s[6:7]
	v_mov_b32_e32 v21, s10
	s_xor_b64 exec, exec, s[6:7]
	s_cbranch_execnz .LBB2_444
.LBB2_186:
	s_or_b64 exec, exec, s[6:7]
	s_and_saveexec_b64 s[6:7], s[4:5]
	s_cbranch_execz .LBB2_188
.LBB2_187:
	v_mov_b32_e32 v21, 7
	v_and_b32_sdwa v22, v9, v21 dst_sel:DWORD dst_unused:UNUSED_PAD src0_sel:WORD_1 src1_sel:DWORD
	v_ffbh_u32_e32 v24, v22
	v_mov_b32_e32 v23, 3
	v_min_u32_e32 v24, 32, v24
	v_lshrrev_b16_sdwa v23, v23, v9 dst_sel:DWORD dst_unused:UNUSED_PAD src0_sel:DWORD src1_sel:WORD_1
	v_subrev_u32_e32 v25, 28, v24
	v_and_b32_e32 v23, 15, v23
	v_lshlrev_b32_e32 v25, v25, v22
	v_sub_u32_e32 v24, 29, v24
	v_and_b32_e32 v25, 7, v25
	v_cmp_eq_u16_e32 vcc, 0, v23
	v_lshrrev_b16_sdwa v21, v21, v9 dst_sel:DWORD dst_unused:UNUSED_PAD src0_sel:DWORD src1_sel:WORD_1
	v_cndmask_b32_e32 v22, v22, v25, vcc
	v_cndmask_b32_e32 v23, v23, v24, vcc
	v_mov_b32_e32 v24, 0x3b800000
	v_lshlrev_b32_e32 v22, 20, v22
	v_lshlrev_b32_e32 v21, 31, v21
	v_lshl_add_u32 v23, v23, 23, v24
	v_or3_b32 v21, v21, v23, v22
.LBB2_188:
	s_or_b64 exec, exec, s[6:7]
	v_mov_b32_e32 v22, 8
	v_lshrrev_b16_sdwa v23, v22, v9 dst_sel:DWORD dst_unused:UNUSED_PAD src0_sel:DWORD src1_sel:WORD_1
	s_movk_i32 s4, 0x7f
	v_cmp_lt_i16_e32 vcc, s4, v23
	s_mov_b64 s[4:5], 0
                                        ; implicit-def: $sgpr10
	s_and_saveexec_b64 s[6:7], vcc
	s_xor_b64 s[6:7], exec, s[6:7]
	s_cbranch_execnz .LBB2_445
; %bb.189:
	s_or_saveexec_b64 s[6:7], s[6:7]
	v_mov_b32_e32 v22, s10
	s_xor_b64 exec, exec, s[6:7]
	s_cbranch_execnz .LBB2_448
.LBB2_190:
	s_or_b64 exec, exec, s[6:7]
	s_and_saveexec_b64 s[6:7], s[4:5]
	s_cbranch_execz .LBB2_192
.LBB2_191:
	v_mov_b32_e32 v22, 8
	v_lshrrev_b16_sdwa v22, v22, v9 dst_sel:DWORD dst_unused:UNUSED_PAD src0_sel:DWORD src1_sel:WORD_1
	v_and_b32_e32 v22, 7, v22
	v_mov_b32_e32 v23, 15
	v_mov_b32_e32 v24, 11
	v_lshrrev_b16_sdwa v23, v23, v9 dst_sel:DWORD dst_unused:UNUSED_PAD src0_sel:DWORD src1_sel:WORD_1
	v_lshrrev_b16_sdwa v9, v24, v9 dst_sel:DWORD dst_unused:UNUSED_PAD src0_sel:DWORD src1_sel:WORD_1
	v_ffbh_u32_e32 v24, v22
	v_min_u32_e32 v24, 32, v24
	v_subrev_u32_e32 v25, 28, v24
	v_and_b32_e32 v9, 15, v9
	v_lshlrev_b32_e32 v25, v25, v22
	v_sub_u32_e32 v24, 29, v24
	v_and_b32_e32 v25, 7, v25
	v_cmp_eq_u16_e32 vcc, 0, v9
	v_cndmask_b32_e32 v22, v22, v25, vcc
	v_cndmask_b32_e32 v9, v9, v24, vcc
	v_mov_b32_e32 v24, 0x3b800000
	v_lshlrev_b32_e32 v22, 20, v22
	v_lshlrev_b32_e32 v23, 31, v23
	v_lshl_add_u32 v9, v9, 23, v24
	v_or3_b32 v22, v23, v9, v22
.LBB2_192:
	s_or_b64 exec, exec, s[6:7]
	v_cvt_pkrtz_f16_f32 v24, v2, v3
	v_cvt_pkrtz_f16_f32 v25, v12, v13
	;; [unrolled: 1-line block ×8, first 2 shown]
	flat_store_dwordx4 v[4:5], v[24:27] offset:64
	flat_store_dwordx4 v[4:5], v[6:9] offset:80
	flat_load_dwordx2 v[2:3], v[0:1] offset:52
	flat_load_dwordx2 v[12:13], v[0:1] offset:16
	s_nop 0
	flat_load_dword v9, v[0:1] offset:44
	flat_load_dwordx3 v[6:8], v[0:1]
	s_movk_i32 s4, 0x7f
                                        ; implicit-def: $sgpr10
	s_waitcnt vmcnt(0) lgkmcnt(0)
	v_add_u32_e32 v0, 48, v3
	v_ashrrev_i32_e32 v3, 31, v12
	v_sub_u32_e32 v1, v13, v9
	v_sub_u32_e32 v8, v12, v8
	v_ashrrev_i32_e32 v9, 31, v0
	v_lshrrev_b32_e32 v3, 28, v3
	v_lshl_add_u32 v6, v8, 8, v6
	v_lshrrev_b32_e32 v8, 28, v9
	v_add_u32_e32 v3, v12, v3
	v_sub_u32_e32 v2, v6, v2
	v_add_u32_e32 v6, v0, v8
	v_and_b32_e32 v3, 0xffffff0, v3
	v_lshrrev_b32_e32 v8, 4, v6
	v_sub_u32_e32 v3, v12, v3
	v_add_u32_e32 v1, v1, v8
	v_xor_b32_e32 v1, v1, v3
	v_and_b32_e32 v6, -16, v6
	v_sub_u32_e32 v1, v1, v7
	v_sub_u32_e32 v0, v0, v6
	v_lshlrev_b32_e32 v1, 4, v1
	v_add3_u32 v0, v2, v0, v1
	v_ashrrev_i32_e32 v1, 31, v0
	v_add_co_u32_e32 v0, vcc, v10, v0
	v_addc_co_u32_e32 v1, vcc, v11, v1, vcc
	flat_load_dwordx4 v[0:3], v[0:1]
	s_waitcnt vmcnt(0) lgkmcnt(0)
	v_cmp_gt_i16_sdwa s[6:7], v0, s4 src0_sel:BYTE_0 src1_sel:DWORD
	s_mov_b64 s[4:5], 0
	s_and_saveexec_b64 s[8:9], s[6:7]
	s_xor_b64 s[6:7], exec, s[8:9]
	s_cbranch_execnz .LBB2_449
; %bb.193:
	s_or_saveexec_b64 s[6:7], s[6:7]
	v_mov_b32_e32 v6, s10
	s_xor_b64 exec, exec, s[6:7]
	s_cbranch_execnz .LBB2_452
.LBB2_194:
	s_or_b64 exec, exec, s[6:7]
	s_and_saveexec_b64 s[6:7], s[4:5]
	s_cbranch_execz .LBB2_196
.LBB2_195:
	v_and_b32_e32 v6, 7, v0
	v_ffbh_u32_e32 v9, v6
	v_min_u32_e32 v9, 32, v9
	v_lshrrev_b16_e32 v8, 3, v0
	v_subrev_u32_e32 v10, 28, v9
	v_and_b32_e32 v8, 15, v8
	v_lshlrev_b32_e32 v10, v10, v6
	v_sub_u32_e32 v9, 29, v9
	v_and_b32_e32 v10, 7, v10
	v_cmp_eq_u16_e32 vcc, 0, v8
	v_lshrrev_b16_e32 v7, 7, v0
	v_cndmask_b32_e32 v6, v6, v10, vcc
	v_cndmask_b32_e32 v8, v8, v9, vcc
	v_mov_b32_e32 v9, 0x3b800000
	v_lshlrev_b32_e32 v6, 20, v6
	v_lshlrev_b32_e32 v7, 31, v7
	v_lshl_add_u32 v8, v8, 23, v9
	v_or3_b32 v6, v7, v8, v6
.LBB2_196:
	s_or_b64 exec, exec, s[6:7]
	s_movk_i32 s4, 0x7f
	v_cmp_gt_i16_sdwa s[6:7], v0, s4 src0_sel:BYTE_1 src1_sel:DWORD
	s_mov_b64 s[4:5], 0
                                        ; implicit-def: $sgpr10
	s_and_saveexec_b64 s[8:9], s[6:7]
	s_xor_b64 s[6:7], exec, s[8:9]
	s_cbranch_execnz .LBB2_453
; %bb.197:
	s_or_saveexec_b64 s[6:7], s[6:7]
	v_mov_b32_e32 v7, s10
	s_xor_b64 exec, exec, s[6:7]
	s_cbranch_execnz .LBB2_456
.LBB2_198:
	s_or_b64 exec, exec, s[6:7]
	s_and_saveexec_b64 s[6:7], s[4:5]
	s_cbranch_execz .LBB2_200
.LBB2_199:
	v_mov_b32_e32 v7, 7
	v_and_b32_sdwa v7, v0, v7 dst_sel:DWORD dst_unused:UNUSED_PAD src0_sel:BYTE_1 src1_sel:DWORD
	v_ffbh_u32_e32 v10, v7
	v_min_u32_e32 v10, 32, v10
	v_lshrrev_b16_e32 v9, 11, v0
	v_subrev_u32_e32 v11, 28, v10
	v_and_b32_e32 v9, 15, v9
	v_lshlrev_b32_e32 v11, v11, v7
	v_sub_u32_e32 v10, 29, v10
	v_and_b32_e32 v11, 7, v11
	v_cmp_eq_u16_e32 vcc, 0, v9
	v_lshrrev_b16_e32 v8, 15, v0
	v_cndmask_b32_e32 v7, v7, v11, vcc
	v_cndmask_b32_e32 v9, v9, v10, vcc
	v_mov_b32_e32 v10, 0x3b800000
	v_lshlrev_b32_e32 v7, 20, v7
	v_lshlrev_b32_e32 v8, 31, v8
	v_lshl_add_u32 v9, v9, 23, v10
	v_or3_b32 v7, v8, v9, v7
.LBB2_200:
	s_or_b64 exec, exec, s[6:7]
	s_movk_i32 s4, 0xff
	v_and_b32_sdwa v9, v0, s4 dst_sel:DWORD dst_unused:UNUSED_PAD src0_sel:WORD_1 src1_sel:DWORD
	s_movk_i32 s4, 0x7f
	v_cmp_lt_i16_e32 vcc, s4, v9
	s_mov_b64 s[4:5], 0
                                        ; implicit-def: $sgpr10
	s_and_saveexec_b64 s[6:7], vcc
	s_xor_b64 s[6:7], exec, s[6:7]
	s_cbranch_execnz .LBB2_457
; %bb.201:
	s_or_saveexec_b64 s[6:7], s[6:7]
	v_mov_b32_e32 v8, s10
	s_xor_b64 exec, exec, s[6:7]
	s_cbranch_execnz .LBB2_460
.LBB2_202:
	s_or_b64 exec, exec, s[6:7]
	s_and_saveexec_b64 s[6:7], s[4:5]
	s_cbranch_execz .LBB2_204
.LBB2_203:
	v_mov_b32_e32 v8, 7
	v_and_b32_sdwa v9, v0, v8 dst_sel:DWORD dst_unused:UNUSED_PAD src0_sel:WORD_1 src1_sel:DWORD
	v_ffbh_u32_e32 v11, v9
	v_mov_b32_e32 v10, 3
	v_min_u32_e32 v11, 32, v11
	v_lshrrev_b16_sdwa v10, v10, v0 dst_sel:DWORD dst_unused:UNUSED_PAD src0_sel:DWORD src1_sel:WORD_1
	v_subrev_u32_e32 v12, 28, v11
	v_and_b32_e32 v10, 15, v10
	v_lshlrev_b32_e32 v12, v12, v9
	v_sub_u32_e32 v11, 29, v11
	v_and_b32_e32 v12, 7, v12
	v_cmp_eq_u16_e32 vcc, 0, v10
	v_lshrrev_b16_sdwa v8, v8, v0 dst_sel:DWORD dst_unused:UNUSED_PAD src0_sel:DWORD src1_sel:WORD_1
	v_cndmask_b32_e32 v9, v9, v12, vcc
	v_cndmask_b32_e32 v10, v10, v11, vcc
	v_mov_b32_e32 v11, 0x3b800000
	v_lshlrev_b32_e32 v9, 20, v9
	v_lshlrev_b32_e32 v8, 31, v8
	v_lshl_add_u32 v10, v10, 23, v11
	v_or3_b32 v8, v8, v10, v9
.LBB2_204:
	s_or_b64 exec, exec, s[6:7]
	v_mov_b32_e32 v9, 8
	v_lshrrev_b16_sdwa v10, v9, v0 dst_sel:DWORD dst_unused:UNUSED_PAD src0_sel:DWORD src1_sel:WORD_1
	s_movk_i32 s4, 0x7f
	v_cmp_lt_i16_e32 vcc, s4, v10
	s_mov_b64 s[4:5], 0
                                        ; implicit-def: $sgpr10
	s_and_saveexec_b64 s[6:7], vcc
	s_xor_b64 s[6:7], exec, s[6:7]
	s_cbranch_execnz .LBB2_461
; %bb.205:
	s_or_saveexec_b64 s[6:7], s[6:7]
	v_mov_b32_e32 v9, s10
	s_xor_b64 exec, exec, s[6:7]
	s_cbranch_execnz .LBB2_464
.LBB2_206:
	s_or_b64 exec, exec, s[6:7]
	s_and_saveexec_b64 s[6:7], s[4:5]
	s_cbranch_execz .LBB2_208
.LBB2_207:
	v_mov_b32_e32 v9, 8
	v_lshrrev_b16_sdwa v9, v9, v0 dst_sel:DWORD dst_unused:UNUSED_PAD src0_sel:DWORD src1_sel:WORD_1
	v_and_b32_e32 v9, 7, v9
	v_mov_b32_e32 v10, 15
	v_mov_b32_e32 v11, 11
	v_lshrrev_b16_sdwa v10, v10, v0 dst_sel:DWORD dst_unused:UNUSED_PAD src0_sel:DWORD src1_sel:WORD_1
	v_lshrrev_b16_sdwa v0, v11, v0 dst_sel:DWORD dst_unused:UNUSED_PAD src0_sel:DWORD src1_sel:WORD_1
	v_ffbh_u32_e32 v11, v9
	v_min_u32_e32 v11, 32, v11
	v_subrev_u32_e32 v12, 28, v11
	v_and_b32_e32 v0, 15, v0
	v_lshlrev_b32_e32 v12, v12, v9
	v_sub_u32_e32 v11, 29, v11
	v_and_b32_e32 v12, 7, v12
	v_cmp_eq_u16_e32 vcc, 0, v0
	v_cndmask_b32_e32 v9, v9, v12, vcc
	v_cndmask_b32_e32 v0, v0, v11, vcc
	v_mov_b32_e32 v11, 0x3b800000
	v_lshlrev_b32_e32 v9, 20, v9
	v_lshlrev_b32_e32 v10, 31, v10
	v_lshl_add_u32 v0, v0, 23, v11
	v_or3_b32 v9, v10, v0, v9
.LBB2_208:
	s_or_b64 exec, exec, s[6:7]
	s_movk_i32 s4, 0x7f
	v_cmp_gt_i16_sdwa s[6:7], v1, s4 src0_sel:BYTE_0 src1_sel:DWORD
	s_mov_b64 s[4:5], 0
                                        ; implicit-def: $sgpr10
	s_and_saveexec_b64 s[8:9], s[6:7]
	s_xor_b64 s[6:7], exec, s[8:9]
	s_cbranch_execnz .LBB2_465
; %bb.209:
	s_or_saveexec_b64 s[6:7], s[6:7]
	v_mov_b32_e32 v0, s10
	s_xor_b64 exec, exec, s[6:7]
	s_cbranch_execnz .LBB2_468
.LBB2_210:
	s_or_b64 exec, exec, s[6:7]
	s_and_saveexec_b64 s[6:7], s[4:5]
	s_cbranch_execz .LBB2_212
.LBB2_211:
	v_and_b32_e32 v0, 7, v1
	v_ffbh_u32_e32 v12, v0
	v_min_u32_e32 v12, 32, v12
	v_lshrrev_b16_e32 v11, 3, v1
	v_subrev_u32_e32 v13, 28, v12
	v_and_b32_e32 v11, 15, v11
	v_lshlrev_b32_e32 v13, v13, v0
	v_sub_u32_e32 v12, 29, v12
	v_and_b32_e32 v13, 7, v13
	v_cmp_eq_u16_e32 vcc, 0, v11
	v_lshrrev_b16_e32 v10, 7, v1
	v_cndmask_b32_e32 v0, v0, v13, vcc
	v_cndmask_b32_e32 v11, v11, v12, vcc
	v_mov_b32_e32 v12, 0x3b800000
	v_lshlrev_b32_e32 v0, 20, v0
	v_lshlrev_b32_e32 v10, 31, v10
	v_lshl_add_u32 v11, v11, 23, v12
	v_or3_b32 v0, v10, v11, v0
.LBB2_212:
	s_or_b64 exec, exec, s[6:7]
	s_movk_i32 s4, 0x7f
	v_cmp_gt_i16_sdwa s[6:7], v1, s4 src0_sel:BYTE_1 src1_sel:DWORD
	s_mov_b64 s[4:5], 0
                                        ; implicit-def: $sgpr10
	s_and_saveexec_b64 s[8:9], s[6:7]
	s_xor_b64 s[6:7], exec, s[8:9]
	s_cbranch_execnz .LBB2_469
; %bb.213:
	s_or_saveexec_b64 s[6:7], s[6:7]
	v_mov_b32_e32 v10, s10
	s_xor_b64 exec, exec, s[6:7]
	s_cbranch_execnz .LBB2_472
.LBB2_214:
	s_or_b64 exec, exec, s[6:7]
	s_and_saveexec_b64 s[6:7], s[4:5]
	s_cbranch_execz .LBB2_216
.LBB2_215:
	v_mov_b32_e32 v10, 7
	v_and_b32_sdwa v10, v1, v10 dst_sel:DWORD dst_unused:UNUSED_PAD src0_sel:BYTE_1 src1_sel:DWORD
	v_ffbh_u32_e32 v13, v10
	v_min_u32_e32 v13, 32, v13
	v_lshrrev_b16_e32 v12, 11, v1
	v_subrev_u32_e32 v14, 28, v13
	v_and_b32_e32 v12, 15, v12
	v_lshlrev_b32_e32 v14, v14, v10
	v_sub_u32_e32 v13, 29, v13
	v_and_b32_e32 v14, 7, v14
	v_cmp_eq_u16_e32 vcc, 0, v12
	v_lshrrev_b16_e32 v11, 15, v1
	v_cndmask_b32_e32 v10, v10, v14, vcc
	v_cndmask_b32_e32 v12, v12, v13, vcc
	v_mov_b32_e32 v13, 0x3b800000
	v_lshlrev_b32_e32 v10, 20, v10
	v_lshlrev_b32_e32 v11, 31, v11
	v_lshl_add_u32 v12, v12, 23, v13
	v_or3_b32 v10, v11, v12, v10
.LBB2_216:
	s_or_b64 exec, exec, s[6:7]
	s_movk_i32 s4, 0xff
	v_and_b32_sdwa v12, v1, s4 dst_sel:DWORD dst_unused:UNUSED_PAD src0_sel:WORD_1 src1_sel:DWORD
	s_movk_i32 s4, 0x7f
	v_cmp_lt_i16_e32 vcc, s4, v12
	s_mov_b64 s[4:5], 0
                                        ; implicit-def: $sgpr10
	s_and_saveexec_b64 s[6:7], vcc
	s_xor_b64 s[6:7], exec, s[6:7]
	s_cbranch_execnz .LBB2_473
; %bb.217:
	s_or_saveexec_b64 s[6:7], s[6:7]
	v_mov_b32_e32 v11, s10
	s_xor_b64 exec, exec, s[6:7]
	s_cbranch_execnz .LBB2_476
.LBB2_218:
	s_or_b64 exec, exec, s[6:7]
	s_and_saveexec_b64 s[6:7], s[4:5]
	s_cbranch_execz .LBB2_220
.LBB2_219:
	v_mov_b32_e32 v11, 7
	v_and_b32_sdwa v12, v1, v11 dst_sel:DWORD dst_unused:UNUSED_PAD src0_sel:WORD_1 src1_sel:DWORD
	v_ffbh_u32_e32 v14, v12
	v_mov_b32_e32 v13, 3
	v_min_u32_e32 v14, 32, v14
	v_lshrrev_b16_sdwa v13, v13, v1 dst_sel:DWORD dst_unused:UNUSED_PAD src0_sel:DWORD src1_sel:WORD_1
	v_subrev_u32_e32 v15, 28, v14
	v_and_b32_e32 v13, 15, v13
	v_lshlrev_b32_e32 v15, v15, v12
	v_sub_u32_e32 v14, 29, v14
	v_and_b32_e32 v15, 7, v15
	v_cmp_eq_u16_e32 vcc, 0, v13
	v_lshrrev_b16_sdwa v11, v11, v1 dst_sel:DWORD dst_unused:UNUSED_PAD src0_sel:DWORD src1_sel:WORD_1
	v_cndmask_b32_e32 v12, v12, v15, vcc
	v_cndmask_b32_e32 v13, v13, v14, vcc
	v_mov_b32_e32 v14, 0x3b800000
	v_lshlrev_b32_e32 v12, 20, v12
	v_lshlrev_b32_e32 v11, 31, v11
	v_lshl_add_u32 v13, v13, 23, v14
	v_or3_b32 v11, v11, v13, v12
.LBB2_220:
	s_or_b64 exec, exec, s[6:7]
	v_mov_b32_e32 v12, 8
	v_lshrrev_b16_sdwa v13, v12, v1 dst_sel:DWORD dst_unused:UNUSED_PAD src0_sel:DWORD src1_sel:WORD_1
	s_movk_i32 s4, 0x7f
	v_cmp_lt_i16_e32 vcc, s4, v13
	s_mov_b64 s[4:5], 0
                                        ; implicit-def: $sgpr10
	s_and_saveexec_b64 s[6:7], vcc
	s_xor_b64 s[6:7], exec, s[6:7]
	s_cbranch_execnz .LBB2_477
; %bb.221:
	s_or_saveexec_b64 s[6:7], s[6:7]
	v_mov_b32_e32 v12, s10
	s_xor_b64 exec, exec, s[6:7]
	s_cbranch_execnz .LBB2_480
.LBB2_222:
	s_or_b64 exec, exec, s[6:7]
	s_and_saveexec_b64 s[6:7], s[4:5]
	s_cbranch_execz .LBB2_224
.LBB2_223:
	v_mov_b32_e32 v12, 8
	v_lshrrev_b16_sdwa v12, v12, v1 dst_sel:DWORD dst_unused:UNUSED_PAD src0_sel:DWORD src1_sel:WORD_1
	v_and_b32_e32 v12, 7, v12
	v_mov_b32_e32 v13, 15
	v_mov_b32_e32 v14, 11
	v_lshrrev_b16_sdwa v13, v13, v1 dst_sel:DWORD dst_unused:UNUSED_PAD src0_sel:DWORD src1_sel:WORD_1
	v_lshrrev_b16_sdwa v1, v14, v1 dst_sel:DWORD dst_unused:UNUSED_PAD src0_sel:DWORD src1_sel:WORD_1
	v_ffbh_u32_e32 v14, v12
	v_min_u32_e32 v14, 32, v14
	v_subrev_u32_e32 v15, 28, v14
	v_and_b32_e32 v1, 15, v1
	v_lshlrev_b32_e32 v15, v15, v12
	v_sub_u32_e32 v14, 29, v14
	v_and_b32_e32 v15, 7, v15
	v_cmp_eq_u16_e32 vcc, 0, v1
	v_cndmask_b32_e32 v12, v12, v15, vcc
	v_cndmask_b32_e32 v1, v1, v14, vcc
	v_mov_b32_e32 v14, 0x3b800000
	v_lshlrev_b32_e32 v12, 20, v12
	v_lshlrev_b32_e32 v13, 31, v13
	v_lshl_add_u32 v1, v1, 23, v14
	v_or3_b32 v12, v13, v1, v12
.LBB2_224:
	s_or_b64 exec, exec, s[6:7]
	s_movk_i32 s4, 0x7f
	v_cmp_gt_i16_sdwa s[6:7], v2, s4 src0_sel:BYTE_0 src1_sel:DWORD
	s_mov_b64 s[4:5], 0
                                        ; implicit-def: $sgpr10
	s_and_saveexec_b64 s[8:9], s[6:7]
	s_xor_b64 s[6:7], exec, s[8:9]
	s_cbranch_execnz .LBB2_481
; %bb.225:
	s_or_saveexec_b64 s[6:7], s[6:7]
	v_mov_b32_e32 v1, s10
	s_xor_b64 exec, exec, s[6:7]
	s_cbranch_execnz .LBB2_484
.LBB2_226:
	s_or_b64 exec, exec, s[6:7]
	s_and_saveexec_b64 s[6:7], s[4:5]
	s_cbranch_execz .LBB2_228
.LBB2_227:
	v_and_b32_e32 v1, 7, v2
	v_ffbh_u32_e32 v15, v1
	v_min_u32_e32 v15, 32, v15
	v_lshrrev_b16_e32 v14, 3, v2
	v_subrev_u32_e32 v16, 28, v15
	v_and_b32_e32 v14, 15, v14
	v_lshlrev_b32_e32 v16, v16, v1
	v_sub_u32_e32 v15, 29, v15
	v_and_b32_e32 v16, 7, v16
	v_cmp_eq_u16_e32 vcc, 0, v14
	v_lshrrev_b16_e32 v13, 7, v2
	v_cndmask_b32_e32 v1, v1, v16, vcc
	v_cndmask_b32_e32 v14, v14, v15, vcc
	v_mov_b32_e32 v15, 0x3b800000
	v_lshlrev_b32_e32 v1, 20, v1
	v_lshlrev_b32_e32 v13, 31, v13
	v_lshl_add_u32 v14, v14, 23, v15
	v_or3_b32 v1, v13, v14, v1
.LBB2_228:
	s_or_b64 exec, exec, s[6:7]
	s_movk_i32 s4, 0x7f
	v_cmp_gt_i16_sdwa s[6:7], v2, s4 src0_sel:BYTE_1 src1_sel:DWORD
	s_mov_b64 s[4:5], 0
                                        ; implicit-def: $sgpr10
	s_and_saveexec_b64 s[8:9], s[6:7]
	s_xor_b64 s[6:7], exec, s[8:9]
	s_cbranch_execnz .LBB2_485
; %bb.229:
	s_or_saveexec_b64 s[6:7], s[6:7]
	v_mov_b32_e32 v13, s10
	s_xor_b64 exec, exec, s[6:7]
	s_cbranch_execnz .LBB2_488
.LBB2_230:
	s_or_b64 exec, exec, s[6:7]
	s_and_saveexec_b64 s[6:7], s[4:5]
	s_cbranch_execz .LBB2_232
.LBB2_231:
	v_mov_b32_e32 v13, 7
	v_and_b32_sdwa v13, v2, v13 dst_sel:DWORD dst_unused:UNUSED_PAD src0_sel:BYTE_1 src1_sel:DWORD
	v_ffbh_u32_e32 v16, v13
	v_min_u32_e32 v16, 32, v16
	v_lshrrev_b16_e32 v15, 11, v2
	v_subrev_u32_e32 v17, 28, v16
	v_and_b32_e32 v15, 15, v15
	v_lshlrev_b32_e32 v17, v17, v13
	v_sub_u32_e32 v16, 29, v16
	v_and_b32_e32 v17, 7, v17
	v_cmp_eq_u16_e32 vcc, 0, v15
	v_lshrrev_b16_e32 v14, 15, v2
	v_cndmask_b32_e32 v13, v13, v17, vcc
	v_cndmask_b32_e32 v15, v15, v16, vcc
	v_mov_b32_e32 v16, 0x3b800000
	v_lshlrev_b32_e32 v13, 20, v13
	v_lshlrev_b32_e32 v14, 31, v14
	v_lshl_add_u32 v15, v15, 23, v16
	v_or3_b32 v13, v14, v15, v13
.LBB2_232:
	s_or_b64 exec, exec, s[6:7]
	s_movk_i32 s4, 0xff
	v_and_b32_sdwa v15, v2, s4 dst_sel:DWORD dst_unused:UNUSED_PAD src0_sel:WORD_1 src1_sel:DWORD
	s_movk_i32 s4, 0x7f
	v_cmp_lt_i16_e32 vcc, s4, v15
	s_mov_b64 s[4:5], 0
                                        ; implicit-def: $sgpr10
	s_and_saveexec_b64 s[6:7], vcc
	s_xor_b64 s[6:7], exec, s[6:7]
	s_cbranch_execnz .LBB2_489
; %bb.233:
	s_or_saveexec_b64 s[6:7], s[6:7]
	v_mov_b32_e32 v14, s10
	s_xor_b64 exec, exec, s[6:7]
	s_cbranch_execnz .LBB2_492
.LBB2_234:
	s_or_b64 exec, exec, s[6:7]
	s_and_saveexec_b64 s[6:7], s[4:5]
	s_cbranch_execz .LBB2_236
.LBB2_235:
	v_mov_b32_e32 v14, 7
	v_and_b32_sdwa v15, v2, v14 dst_sel:DWORD dst_unused:UNUSED_PAD src0_sel:WORD_1 src1_sel:DWORD
	v_ffbh_u32_e32 v17, v15
	v_mov_b32_e32 v16, 3
	v_min_u32_e32 v17, 32, v17
	v_lshrrev_b16_sdwa v16, v16, v2 dst_sel:DWORD dst_unused:UNUSED_PAD src0_sel:DWORD src1_sel:WORD_1
	v_subrev_u32_e32 v18, 28, v17
	v_and_b32_e32 v16, 15, v16
	v_lshlrev_b32_e32 v18, v18, v15
	v_sub_u32_e32 v17, 29, v17
	v_and_b32_e32 v18, 7, v18
	v_cmp_eq_u16_e32 vcc, 0, v16
	v_lshrrev_b16_sdwa v14, v14, v2 dst_sel:DWORD dst_unused:UNUSED_PAD src0_sel:DWORD src1_sel:WORD_1
	v_cndmask_b32_e32 v15, v15, v18, vcc
	v_cndmask_b32_e32 v16, v16, v17, vcc
	v_mov_b32_e32 v17, 0x3b800000
	v_lshlrev_b32_e32 v15, 20, v15
	v_lshlrev_b32_e32 v14, 31, v14
	v_lshl_add_u32 v16, v16, 23, v17
	v_or3_b32 v14, v14, v16, v15
.LBB2_236:
	s_or_b64 exec, exec, s[6:7]
	v_mov_b32_e32 v15, 8
	v_lshrrev_b16_sdwa v16, v15, v2 dst_sel:DWORD dst_unused:UNUSED_PAD src0_sel:DWORD src1_sel:WORD_1
	s_movk_i32 s4, 0x7f
	v_cmp_lt_i16_e32 vcc, s4, v16
	s_mov_b64 s[4:5], 0
                                        ; implicit-def: $sgpr10
	s_and_saveexec_b64 s[6:7], vcc
	s_xor_b64 s[6:7], exec, s[6:7]
	s_cbranch_execnz .LBB2_493
; %bb.237:
	s_or_saveexec_b64 s[6:7], s[6:7]
	v_mov_b32_e32 v15, s10
	s_xor_b64 exec, exec, s[6:7]
	s_cbranch_execnz .LBB2_496
.LBB2_238:
	s_or_b64 exec, exec, s[6:7]
	s_and_saveexec_b64 s[6:7], s[4:5]
	s_cbranch_execz .LBB2_240
.LBB2_239:
	v_mov_b32_e32 v15, 8
	v_lshrrev_b16_sdwa v15, v15, v2 dst_sel:DWORD dst_unused:UNUSED_PAD src0_sel:DWORD src1_sel:WORD_1
	v_and_b32_e32 v15, 7, v15
	v_mov_b32_e32 v16, 15
	v_mov_b32_e32 v17, 11
	v_lshrrev_b16_sdwa v16, v16, v2 dst_sel:DWORD dst_unused:UNUSED_PAD src0_sel:DWORD src1_sel:WORD_1
	v_lshrrev_b16_sdwa v2, v17, v2 dst_sel:DWORD dst_unused:UNUSED_PAD src0_sel:DWORD src1_sel:WORD_1
	v_ffbh_u32_e32 v17, v15
	v_min_u32_e32 v17, 32, v17
	v_subrev_u32_e32 v18, 28, v17
	v_and_b32_e32 v2, 15, v2
	v_lshlrev_b32_e32 v18, v18, v15
	v_sub_u32_e32 v17, 29, v17
	v_and_b32_e32 v18, 7, v18
	v_cmp_eq_u16_e32 vcc, 0, v2
	v_cndmask_b32_e32 v15, v15, v18, vcc
	v_cndmask_b32_e32 v2, v2, v17, vcc
	v_mov_b32_e32 v17, 0x3b800000
	v_lshlrev_b32_e32 v15, 20, v15
	v_lshlrev_b32_e32 v16, 31, v16
	v_lshl_add_u32 v2, v2, 23, v17
	v_or3_b32 v15, v16, v2, v15
.LBB2_240:
	s_or_b64 exec, exec, s[6:7]
	s_movk_i32 s4, 0x7f
	v_cmp_gt_i16_sdwa s[6:7], v3, s4 src0_sel:BYTE_0 src1_sel:DWORD
	s_mov_b64 s[4:5], 0
                                        ; implicit-def: $sgpr10
	s_and_saveexec_b64 s[8:9], s[6:7]
	s_xor_b64 s[6:7], exec, s[8:9]
	s_cbranch_execnz .LBB2_497
; %bb.241:
	s_or_saveexec_b64 s[6:7], s[6:7]
	v_mov_b32_e32 v2, s10
	s_xor_b64 exec, exec, s[6:7]
	s_cbranch_execnz .LBB2_500
.LBB2_242:
	s_or_b64 exec, exec, s[6:7]
	s_and_saveexec_b64 s[6:7], s[4:5]
	s_cbranch_execz .LBB2_244
.LBB2_243:
	v_and_b32_e32 v2, 7, v3
	v_ffbh_u32_e32 v18, v2
	v_min_u32_e32 v18, 32, v18
	v_lshrrev_b16_e32 v17, 3, v3
	v_subrev_u32_e32 v19, 28, v18
	v_and_b32_e32 v17, 15, v17
	v_lshlrev_b32_e32 v19, v19, v2
	v_sub_u32_e32 v18, 29, v18
	v_and_b32_e32 v19, 7, v19
	v_cmp_eq_u16_e32 vcc, 0, v17
	v_lshrrev_b16_e32 v16, 7, v3
	v_cndmask_b32_e32 v2, v2, v19, vcc
	v_cndmask_b32_e32 v17, v17, v18, vcc
	v_mov_b32_e32 v18, 0x3b800000
	v_lshlrev_b32_e32 v2, 20, v2
	v_lshlrev_b32_e32 v16, 31, v16
	v_lshl_add_u32 v17, v17, 23, v18
	v_or3_b32 v2, v16, v17, v2
.LBB2_244:
	s_or_b64 exec, exec, s[6:7]
	s_movk_i32 s4, 0x7f
	v_cmp_gt_i16_sdwa s[6:7], v3, s4 src0_sel:BYTE_1 src1_sel:DWORD
	s_mov_b64 s[4:5], 0
                                        ; implicit-def: $sgpr10
	s_and_saveexec_b64 s[8:9], s[6:7]
	s_xor_b64 s[6:7], exec, s[8:9]
	s_cbranch_execnz .LBB2_501
; %bb.245:
	s_or_saveexec_b64 s[6:7], s[6:7]
	v_mov_b32_e32 v16, s10
	s_xor_b64 exec, exec, s[6:7]
	s_cbranch_execnz .LBB2_504
.LBB2_246:
	s_or_b64 exec, exec, s[6:7]
	s_and_saveexec_b64 s[6:7], s[4:5]
	s_cbranch_execz .LBB2_248
.LBB2_247:
	v_mov_b32_e32 v16, 7
	v_and_b32_sdwa v16, v3, v16 dst_sel:DWORD dst_unused:UNUSED_PAD src0_sel:BYTE_1 src1_sel:DWORD
	v_ffbh_u32_e32 v19, v16
	v_min_u32_e32 v19, 32, v19
	v_lshrrev_b16_e32 v18, 11, v3
	v_subrev_u32_e32 v20, 28, v19
	v_and_b32_e32 v18, 15, v18
	v_lshlrev_b32_e32 v20, v20, v16
	v_sub_u32_e32 v19, 29, v19
	v_and_b32_e32 v20, 7, v20
	v_cmp_eq_u16_e32 vcc, 0, v18
	v_lshrrev_b16_e32 v17, 15, v3
	v_cndmask_b32_e32 v16, v16, v20, vcc
	v_cndmask_b32_e32 v18, v18, v19, vcc
	v_mov_b32_e32 v19, 0x3b800000
	v_lshlrev_b32_e32 v16, 20, v16
	v_lshlrev_b32_e32 v17, 31, v17
	v_lshl_add_u32 v18, v18, 23, v19
	v_or3_b32 v16, v17, v18, v16
.LBB2_248:
	s_or_b64 exec, exec, s[6:7]
	s_movk_i32 s4, 0xff
	v_and_b32_sdwa v18, v3, s4 dst_sel:DWORD dst_unused:UNUSED_PAD src0_sel:WORD_1 src1_sel:DWORD
	s_movk_i32 s4, 0x7f
	v_cmp_lt_i16_e32 vcc, s4, v18
	s_mov_b64 s[4:5], 0
                                        ; implicit-def: $sgpr10
	s_and_saveexec_b64 s[6:7], vcc
	s_xor_b64 s[6:7], exec, s[6:7]
	s_cbranch_execnz .LBB2_505
; %bb.249:
	s_or_saveexec_b64 s[6:7], s[6:7]
	v_mov_b32_e32 v17, s10
	s_xor_b64 exec, exec, s[6:7]
	s_cbranch_execnz .LBB2_508
.LBB2_250:
	s_or_b64 exec, exec, s[6:7]
	s_and_saveexec_b64 s[6:7], s[4:5]
	s_cbranch_execz .LBB2_252
.LBB2_251:
	v_mov_b32_e32 v17, 7
	v_and_b32_sdwa v18, v3, v17 dst_sel:DWORD dst_unused:UNUSED_PAD src0_sel:WORD_1 src1_sel:DWORD
	v_ffbh_u32_e32 v20, v18
	v_mov_b32_e32 v19, 3
	v_min_u32_e32 v20, 32, v20
	v_lshrrev_b16_sdwa v19, v19, v3 dst_sel:DWORD dst_unused:UNUSED_PAD src0_sel:DWORD src1_sel:WORD_1
	v_subrev_u32_e32 v21, 28, v20
	v_and_b32_e32 v19, 15, v19
	v_lshlrev_b32_e32 v21, v21, v18
	v_sub_u32_e32 v20, 29, v20
	v_and_b32_e32 v21, 7, v21
	v_cmp_eq_u16_e32 vcc, 0, v19
	v_lshrrev_b16_sdwa v17, v17, v3 dst_sel:DWORD dst_unused:UNUSED_PAD src0_sel:DWORD src1_sel:WORD_1
	v_cndmask_b32_e32 v18, v18, v21, vcc
	v_cndmask_b32_e32 v19, v19, v20, vcc
	v_mov_b32_e32 v20, 0x3b800000
	v_lshlrev_b32_e32 v18, 20, v18
	v_lshlrev_b32_e32 v17, 31, v17
	v_lshl_add_u32 v19, v19, 23, v20
	v_or3_b32 v17, v17, v19, v18
.LBB2_252:
	s_or_b64 exec, exec, s[6:7]
	v_mov_b32_e32 v18, 8
	v_lshrrev_b16_sdwa v19, v18, v3 dst_sel:DWORD dst_unused:UNUSED_PAD src0_sel:DWORD src1_sel:WORD_1
	s_movk_i32 s4, 0x7f
	v_cmp_lt_i16_e32 vcc, s4, v19
	s_mov_b64 s[4:5], 0
                                        ; implicit-def: $sgpr10
	s_and_saveexec_b64 s[6:7], vcc
	s_xor_b64 s[6:7], exec, s[6:7]
	s_cbranch_execnz .LBB2_509
; %bb.253:
	s_or_saveexec_b64 s[6:7], s[6:7]
	v_mov_b32_e32 v18, s10
	s_xor_b64 exec, exec, s[6:7]
	s_cbranch_execnz .LBB2_512
.LBB2_254:
	s_or_b64 exec, exec, s[6:7]
	s_and_saveexec_b64 s[6:7], s[4:5]
	s_cbranch_execz .LBB2_256
.LBB2_255:
	v_mov_b32_e32 v18, 8
	v_lshrrev_b16_sdwa v18, v18, v3 dst_sel:DWORD dst_unused:UNUSED_PAD src0_sel:DWORD src1_sel:WORD_1
	v_and_b32_e32 v18, 7, v18
	v_mov_b32_e32 v19, 15
	v_mov_b32_e32 v20, 11
	v_lshrrev_b16_sdwa v19, v19, v3 dst_sel:DWORD dst_unused:UNUSED_PAD src0_sel:DWORD src1_sel:WORD_1
	v_lshrrev_b16_sdwa v3, v20, v3 dst_sel:DWORD dst_unused:UNUSED_PAD src0_sel:DWORD src1_sel:WORD_1
	v_ffbh_u32_e32 v20, v18
	v_min_u32_e32 v20, 32, v20
	v_subrev_u32_e32 v21, 28, v20
	v_and_b32_e32 v3, 15, v3
	v_lshlrev_b32_e32 v21, v21, v18
	v_sub_u32_e32 v20, 29, v20
	v_and_b32_e32 v21, 7, v21
	v_cmp_eq_u16_e32 vcc, 0, v3
	v_cndmask_b32_e32 v18, v18, v21, vcc
	v_cndmask_b32_e32 v3, v3, v20, vcc
	v_mov_b32_e32 v20, 0x3b800000
	v_lshlrev_b32_e32 v18, 20, v18
	v_lshlrev_b32_e32 v19, 31, v19
	v_lshl_add_u32 v3, v3, 23, v20
	v_or3_b32 v18, v19, v3, v18
.LBB2_256:
	s_or_b64 exec, exec, s[6:7]
	v_cvt_pkrtz_f16_f32 v6, v6, v7
	v_cvt_pkrtz_f16_f32 v7, v8, v9
	v_cvt_pkrtz_f16_f32 v8, v0, v10
	v_cvt_pkrtz_f16_f32 v9, v11, v12
	v_cvt_pkrtz_f16_f32 v2, v2, v16
	v_cvt_pkrtz_f16_f32 v0, v1, v13
	v_cvt_pkrtz_f16_f32 v1, v14, v15
	v_cvt_pkrtz_f16_f32 v3, v17, v18
	flat_store_dwordx4 v[4:5], v[6:9] offset:96
	flat_store_dwordx4 v[4:5], v[0:3] offset:112
	s_waitcnt vmcnt(0) lgkmcnt(0)
	s_setpc_b64 s[30:31]
.LBB2_257:
	s_movk_i32 s4, 0x80
	v_cmp_eq_u16_sdwa s[12:13], v6, s4 src0_sel:BYTE_0 src1_sel:DWORD
	s_mov_b64 s[4:5], -1
                                        ; implicit-def: $sgpr10
	s_and_saveexec_b64 s[8:9], s[12:13]
; %bb.258:
	s_mov_b32 s10, 0x7f800001
	s_xor_b64 s[4:5], exec, -1
; %bb.259:
	s_or_b64 exec, exec, s[8:9]
	s_and_b64 s[4:5], s[4:5], exec
	s_or_saveexec_b64 s[6:7], s[6:7]
	v_mov_b32_e32 v2, s10
	s_xor_b64 exec, exec, s[6:7]
	s_cbranch_execz .LBB2_2
.LBB2_260:
	v_mov_b32_e32 v2, 0
	v_cmp_ne_u16_sdwa s[8:9], v6, v2 src0_sel:BYTE_0 src1_sel:DWORD
	s_andn2_b64 s[4:5], s[4:5], exec
	s_and_b64 s[8:9], s[8:9], exec
	s_or_b64 s[4:5], s[4:5], s[8:9]
	s_or_b64 exec, exec, s[6:7]
	s_and_saveexec_b64 s[6:7], s[4:5]
	s_cbranch_execnz .LBB2_3
	s_branch .LBB2_4
.LBB2_261:
	s_movk_i32 s4, 0x80
	v_cmp_eq_u16_sdwa s[12:13], v6, s4 src0_sel:BYTE_1 src1_sel:DWORD
	s_mov_b64 s[4:5], -1
                                        ; implicit-def: $sgpr10
	s_and_saveexec_b64 s[8:9], s[12:13]
; %bb.262:
	s_mov_b32 s10, 0x7f800001
	s_xor_b64 s[4:5], exec, -1
; %bb.263:
	s_or_b64 exec, exec, s[8:9]
	s_and_b64 s[4:5], s[4:5], exec
	s_or_saveexec_b64 s[6:7], s[6:7]
	v_mov_b32_e32 v3, s10
	s_xor_b64 exec, exec, s[6:7]
	s_cbranch_execz .LBB2_6
.LBB2_264:
	v_mov_b32_e32 v3, 0
	v_cmp_ne_u16_sdwa s[8:9], v6, v3 src0_sel:BYTE_1 src1_sel:DWORD
	s_andn2_b64 s[4:5], s[4:5], exec
	s_and_b64 s[8:9], s[8:9], exec
	s_or_b64 s[4:5], s[4:5], s[8:9]
	s_or_b64 exec, exec, s[6:7]
	s_and_saveexec_b64 s[6:7], s[4:5]
	s_cbranch_execnz .LBB2_7
	s_branch .LBB2_8
.LBB2_265:
	s_movk_i32 s4, 0x80
	v_cmp_eq_u16_e32 vcc, s4, v13
	s_mov_b64 s[4:5], -1
                                        ; implicit-def: $sgpr10
	s_and_saveexec_b64 s[8:9], vcc
; %bb.266:
	s_mov_b32 s10, 0x7f800001
	s_xor_b64 s[4:5], exec, -1
; %bb.267:
	s_or_b64 exec, exec, s[8:9]
	s_and_b64 s[4:5], s[4:5], exec
                                        ; implicit-def: $vgpr13
	s_or_saveexec_b64 s[6:7], s[6:7]
	v_mov_b32_e32 v12, s10
	s_xor_b64 exec, exec, s[6:7]
	s_cbranch_execz .LBB2_10
.LBB2_268:
	v_cmp_ne_u16_e32 vcc, 0, v13
	s_andn2_b64 s[4:5], s[4:5], exec
	s_and_b64 s[8:9], vcc, exec
	v_mov_b32_e32 v12, 0
	s_or_b64 s[4:5], s[4:5], s[8:9]
	s_or_b64 exec, exec, s[6:7]
	s_and_saveexec_b64 s[6:7], s[4:5]
	s_cbranch_execnz .LBB2_11
	s_branch .LBB2_12
.LBB2_269:
	s_movk_i32 s4, 0x80
	v_cmp_eq_u16_e32 vcc, s4, v14
	s_mov_b64 s[4:5], -1
                                        ; implicit-def: $sgpr10
	s_and_saveexec_b64 s[8:9], vcc
; %bb.270:
	s_mov_b32 s10, 0x7f800001
	s_xor_b64 s[4:5], exec, -1
; %bb.271:
	s_or_b64 exec, exec, s[8:9]
	s_and_b64 s[4:5], s[4:5], exec
                                        ; implicit-def: $vgpr14
	s_or_saveexec_b64 s[6:7], s[6:7]
	v_mov_b32_e32 v13, s10
	s_xor_b64 exec, exec, s[6:7]
	s_cbranch_execz .LBB2_14
.LBB2_272:
	v_cmp_ne_u16_e32 vcc, 0, v14
	s_andn2_b64 s[4:5], s[4:5], exec
	s_and_b64 s[8:9], vcc, exec
	v_mov_b32_e32 v13, 0
	s_or_b64 s[4:5], s[4:5], s[8:9]
	s_or_b64 exec, exec, s[6:7]
	s_and_saveexec_b64 s[6:7], s[4:5]
	s_cbranch_execnz .LBB2_15
	s_branch .LBB2_16
.LBB2_273:
	s_movk_i32 s4, 0x80
	v_cmp_eq_u16_sdwa s[12:13], v7, s4 src0_sel:BYTE_0 src1_sel:DWORD
	s_mov_b64 s[4:5], -1
                                        ; implicit-def: $sgpr10
	s_and_saveexec_b64 s[8:9], s[12:13]
; %bb.274:
	s_mov_b32 s10, 0x7f800001
	s_xor_b64 s[4:5], exec, -1
; %bb.275:
	s_or_b64 exec, exec, s[8:9]
	s_and_b64 s[4:5], s[4:5], exec
	s_or_saveexec_b64 s[6:7], s[6:7]
	v_mov_b32_e32 v6, s10
	s_xor_b64 exec, exec, s[6:7]
	s_cbranch_execz .LBB2_18
.LBB2_276:
	v_mov_b32_e32 v6, 0
	v_cmp_ne_u16_sdwa s[8:9], v7, v6 src0_sel:BYTE_0 src1_sel:DWORD
	s_andn2_b64 s[4:5], s[4:5], exec
	s_and_b64 s[8:9], s[8:9], exec
	s_or_b64 s[4:5], s[4:5], s[8:9]
	s_or_b64 exec, exec, s[6:7]
	s_and_saveexec_b64 s[6:7], s[4:5]
	s_cbranch_execnz .LBB2_19
	s_branch .LBB2_20
.LBB2_277:
	s_movk_i32 s4, 0x80
	v_cmp_eq_u16_sdwa s[12:13], v7, s4 src0_sel:BYTE_1 src1_sel:DWORD
	s_mov_b64 s[4:5], -1
                                        ; implicit-def: $sgpr10
	s_and_saveexec_b64 s[8:9], s[12:13]
; %bb.278:
	s_mov_b32 s10, 0x7f800001
	s_xor_b64 s[4:5], exec, -1
; %bb.279:
	s_or_b64 exec, exec, s[8:9]
	s_and_b64 s[4:5], s[4:5], exec
	s_or_saveexec_b64 s[6:7], s[6:7]
	v_mov_b32_e32 v14, s10
	s_xor_b64 exec, exec, s[6:7]
	s_cbranch_execz .LBB2_22
.LBB2_280:
	v_mov_b32_e32 v14, 0
	v_cmp_ne_u16_sdwa s[8:9], v7, v14 src0_sel:BYTE_1 src1_sel:DWORD
	s_andn2_b64 s[4:5], s[4:5], exec
	s_and_b64 s[8:9], s[8:9], exec
	s_or_b64 s[4:5], s[4:5], s[8:9]
	s_or_b64 exec, exec, s[6:7]
	s_and_saveexec_b64 s[6:7], s[4:5]
	s_cbranch_execnz .LBB2_23
	s_branch .LBB2_24
.LBB2_281:
	s_movk_i32 s4, 0x80
	v_cmp_eq_u16_e32 vcc, s4, v16
	s_mov_b64 s[4:5], -1
                                        ; implicit-def: $sgpr10
	s_and_saveexec_b64 s[8:9], vcc
; %bb.282:
	s_mov_b32 s10, 0x7f800001
	s_xor_b64 s[4:5], exec, -1
; %bb.283:
	s_or_b64 exec, exec, s[8:9]
	s_and_b64 s[4:5], s[4:5], exec
                                        ; implicit-def: $vgpr16
	s_or_saveexec_b64 s[6:7], s[6:7]
	v_mov_b32_e32 v15, s10
	s_xor_b64 exec, exec, s[6:7]
	s_cbranch_execz .LBB2_26
.LBB2_284:
	v_cmp_ne_u16_e32 vcc, 0, v16
	s_andn2_b64 s[4:5], s[4:5], exec
	s_and_b64 s[8:9], vcc, exec
	v_mov_b32_e32 v15, 0
	s_or_b64 s[4:5], s[4:5], s[8:9]
	s_or_b64 exec, exec, s[6:7]
	s_and_saveexec_b64 s[6:7], s[4:5]
	s_cbranch_execnz .LBB2_27
	s_branch .LBB2_28
.LBB2_285:
	s_movk_i32 s4, 0x80
	v_cmp_eq_u16_e32 vcc, s4, v17
	s_mov_b64 s[4:5], -1
                                        ; implicit-def: $sgpr10
	s_and_saveexec_b64 s[8:9], vcc
; %bb.286:
	s_mov_b32 s10, 0x7f800001
	s_xor_b64 s[4:5], exec, -1
; %bb.287:
	s_or_b64 exec, exec, s[8:9]
	s_and_b64 s[4:5], s[4:5], exec
                                        ; implicit-def: $vgpr17
	s_or_saveexec_b64 s[6:7], s[6:7]
	v_mov_b32_e32 v16, s10
	s_xor_b64 exec, exec, s[6:7]
	s_cbranch_execz .LBB2_30
.LBB2_288:
	v_cmp_ne_u16_e32 vcc, 0, v17
	s_andn2_b64 s[4:5], s[4:5], exec
	s_and_b64 s[8:9], vcc, exec
	v_mov_b32_e32 v16, 0
	s_or_b64 s[4:5], s[4:5], s[8:9]
	s_or_b64 exec, exec, s[6:7]
	s_and_saveexec_b64 s[6:7], s[4:5]
	s_cbranch_execnz .LBB2_31
	s_branch .LBB2_32
.LBB2_289:
	s_movk_i32 s4, 0x80
	v_cmp_eq_u16_sdwa s[12:13], v8, s4 src0_sel:BYTE_0 src1_sel:DWORD
	s_mov_b64 s[4:5], -1
                                        ; implicit-def: $sgpr10
	s_and_saveexec_b64 s[8:9], s[12:13]
; %bb.290:
	s_mov_b32 s10, 0x7f800001
	s_xor_b64 s[4:5], exec, -1
; %bb.291:
	s_or_b64 exec, exec, s[8:9]
	s_and_b64 s[4:5], s[4:5], exec
	s_or_saveexec_b64 s[6:7], s[6:7]
	v_mov_b32_e32 v7, s10
	s_xor_b64 exec, exec, s[6:7]
	s_cbranch_execz .LBB2_34
.LBB2_292:
	v_mov_b32_e32 v7, 0
	v_cmp_ne_u16_sdwa s[8:9], v8, v7 src0_sel:BYTE_0 src1_sel:DWORD
	s_andn2_b64 s[4:5], s[4:5], exec
	s_and_b64 s[8:9], s[8:9], exec
	s_or_b64 s[4:5], s[4:5], s[8:9]
	s_or_b64 exec, exec, s[6:7]
	s_and_saveexec_b64 s[6:7], s[4:5]
	s_cbranch_execnz .LBB2_35
	s_branch .LBB2_36
.LBB2_293:
	s_movk_i32 s4, 0x80
	v_cmp_eq_u16_sdwa s[12:13], v8, s4 src0_sel:BYTE_1 src1_sel:DWORD
	s_mov_b64 s[4:5], -1
                                        ; implicit-def: $sgpr10
	s_and_saveexec_b64 s[8:9], s[12:13]
; %bb.294:
	s_mov_b32 s10, 0x7f800001
	s_xor_b64 s[4:5], exec, -1
; %bb.295:
	s_or_b64 exec, exec, s[8:9]
	s_and_b64 s[4:5], s[4:5], exec
	s_or_saveexec_b64 s[6:7], s[6:7]
	v_mov_b32_e32 v17, s10
	s_xor_b64 exec, exec, s[6:7]
	s_cbranch_execz .LBB2_38
.LBB2_296:
	v_mov_b32_e32 v17, 0
	v_cmp_ne_u16_sdwa s[8:9], v8, v17 src0_sel:BYTE_1 src1_sel:DWORD
	s_andn2_b64 s[4:5], s[4:5], exec
	s_and_b64 s[8:9], s[8:9], exec
	s_or_b64 s[4:5], s[4:5], s[8:9]
	s_or_b64 exec, exec, s[6:7]
	s_and_saveexec_b64 s[6:7], s[4:5]
	s_cbranch_execnz .LBB2_39
	s_branch .LBB2_40
.LBB2_297:
	s_movk_i32 s4, 0x80
	v_cmp_eq_u16_e32 vcc, s4, v19
	s_mov_b64 s[4:5], -1
                                        ; implicit-def: $sgpr10
	s_and_saveexec_b64 s[8:9], vcc
; %bb.298:
	s_mov_b32 s10, 0x7f800001
	s_xor_b64 s[4:5], exec, -1
; %bb.299:
	s_or_b64 exec, exec, s[8:9]
	s_and_b64 s[4:5], s[4:5], exec
                                        ; implicit-def: $vgpr19
	s_or_saveexec_b64 s[6:7], s[6:7]
	v_mov_b32_e32 v18, s10
	s_xor_b64 exec, exec, s[6:7]
	s_cbranch_execz .LBB2_42
.LBB2_300:
	v_cmp_ne_u16_e32 vcc, 0, v19
	s_andn2_b64 s[4:5], s[4:5], exec
	s_and_b64 s[8:9], vcc, exec
	v_mov_b32_e32 v18, 0
	s_or_b64 s[4:5], s[4:5], s[8:9]
	s_or_b64 exec, exec, s[6:7]
	s_and_saveexec_b64 s[6:7], s[4:5]
	s_cbranch_execnz .LBB2_43
	s_branch .LBB2_44
.LBB2_301:
	s_movk_i32 s4, 0x80
	v_cmp_eq_u16_e32 vcc, s4, v20
	s_mov_b64 s[4:5], -1
                                        ; implicit-def: $sgpr10
	s_and_saveexec_b64 s[8:9], vcc
; %bb.302:
	s_mov_b32 s10, 0x7f800001
	s_xor_b64 s[4:5], exec, -1
; %bb.303:
	s_or_b64 exec, exec, s[8:9]
	s_and_b64 s[4:5], s[4:5], exec
                                        ; implicit-def: $vgpr20
	s_or_saveexec_b64 s[6:7], s[6:7]
	v_mov_b32_e32 v19, s10
	s_xor_b64 exec, exec, s[6:7]
	s_cbranch_execz .LBB2_46
.LBB2_304:
	v_cmp_ne_u16_e32 vcc, 0, v20
	s_andn2_b64 s[4:5], s[4:5], exec
	s_and_b64 s[8:9], vcc, exec
	v_mov_b32_e32 v19, 0
	s_or_b64 s[4:5], s[4:5], s[8:9]
	s_or_b64 exec, exec, s[6:7]
	s_and_saveexec_b64 s[6:7], s[4:5]
	s_cbranch_execnz .LBB2_47
	s_branch .LBB2_48
.LBB2_305:
	s_movk_i32 s4, 0x80
	v_cmp_eq_u16_sdwa s[12:13], v9, s4 src0_sel:BYTE_0 src1_sel:DWORD
	s_mov_b64 s[4:5], -1
                                        ; implicit-def: $sgpr10
	s_and_saveexec_b64 s[8:9], s[12:13]
; %bb.306:
	s_mov_b32 s10, 0x7f800001
	s_xor_b64 s[4:5], exec, -1
; %bb.307:
	s_or_b64 exec, exec, s[8:9]
	s_and_b64 s[4:5], s[4:5], exec
	s_or_saveexec_b64 s[6:7], s[6:7]
	v_mov_b32_e32 v8, s10
	s_xor_b64 exec, exec, s[6:7]
	s_cbranch_execz .LBB2_50
.LBB2_308:
	v_mov_b32_e32 v8, 0
	v_cmp_ne_u16_sdwa s[8:9], v9, v8 src0_sel:BYTE_0 src1_sel:DWORD
	s_andn2_b64 s[4:5], s[4:5], exec
	s_and_b64 s[8:9], s[8:9], exec
	s_or_b64 s[4:5], s[4:5], s[8:9]
	s_or_b64 exec, exec, s[6:7]
	s_and_saveexec_b64 s[6:7], s[4:5]
	s_cbranch_execnz .LBB2_51
	s_branch .LBB2_52
.LBB2_309:
	s_movk_i32 s4, 0x80
	v_cmp_eq_u16_sdwa s[12:13], v9, s4 src0_sel:BYTE_1 src1_sel:DWORD
	s_mov_b64 s[4:5], -1
                                        ; implicit-def: $sgpr10
	s_and_saveexec_b64 s[8:9], s[12:13]
; %bb.310:
	s_mov_b32 s10, 0x7f800001
	s_xor_b64 s[4:5], exec, -1
; %bb.311:
	s_or_b64 exec, exec, s[8:9]
	s_and_b64 s[4:5], s[4:5], exec
	s_or_saveexec_b64 s[6:7], s[6:7]
	v_mov_b32_e32 v20, s10
	s_xor_b64 exec, exec, s[6:7]
	s_cbranch_execz .LBB2_54
.LBB2_312:
	v_mov_b32_e32 v20, 0
	v_cmp_ne_u16_sdwa s[8:9], v9, v20 src0_sel:BYTE_1 src1_sel:DWORD
	s_andn2_b64 s[4:5], s[4:5], exec
	s_and_b64 s[8:9], s[8:9], exec
	s_or_b64 s[4:5], s[4:5], s[8:9]
	s_or_b64 exec, exec, s[6:7]
	s_and_saveexec_b64 s[6:7], s[4:5]
	s_cbranch_execnz .LBB2_55
	s_branch .LBB2_56
.LBB2_313:
	s_movk_i32 s4, 0x80
	v_cmp_eq_u16_e32 vcc, s4, v22
	s_mov_b64 s[4:5], -1
                                        ; implicit-def: $sgpr10
	s_and_saveexec_b64 s[8:9], vcc
; %bb.314:
	s_mov_b32 s10, 0x7f800001
	s_xor_b64 s[4:5], exec, -1
; %bb.315:
	s_or_b64 exec, exec, s[8:9]
	s_and_b64 s[4:5], s[4:5], exec
                                        ; implicit-def: $vgpr22
	s_or_saveexec_b64 s[6:7], s[6:7]
	v_mov_b32_e32 v21, s10
	s_xor_b64 exec, exec, s[6:7]
	s_cbranch_execz .LBB2_58
.LBB2_316:
	v_cmp_ne_u16_e32 vcc, 0, v22
	s_andn2_b64 s[4:5], s[4:5], exec
	s_and_b64 s[8:9], vcc, exec
	v_mov_b32_e32 v21, 0
	s_or_b64 s[4:5], s[4:5], s[8:9]
	s_or_b64 exec, exec, s[6:7]
	s_and_saveexec_b64 s[6:7], s[4:5]
	s_cbranch_execnz .LBB2_59
	s_branch .LBB2_60
.LBB2_317:
	s_movk_i32 s4, 0x80
	v_cmp_eq_u16_e32 vcc, s4, v23
	s_mov_b64 s[4:5], -1
                                        ; implicit-def: $sgpr10
	s_and_saveexec_b64 s[8:9], vcc
; %bb.318:
	s_mov_b32 s10, 0x7f800001
	s_xor_b64 s[4:5], exec, -1
; %bb.319:
	s_or_b64 exec, exec, s[8:9]
	s_and_b64 s[4:5], s[4:5], exec
                                        ; implicit-def: $vgpr23
	s_or_saveexec_b64 s[6:7], s[6:7]
	v_mov_b32_e32 v22, s10
	s_xor_b64 exec, exec, s[6:7]
	s_cbranch_execz .LBB2_62
.LBB2_320:
	v_cmp_ne_u16_e32 vcc, 0, v23
	s_andn2_b64 s[4:5], s[4:5], exec
	s_and_b64 s[8:9], vcc, exec
	v_mov_b32_e32 v22, 0
	s_or_b64 s[4:5], s[4:5], s[8:9]
	s_or_b64 exec, exec, s[6:7]
	s_and_saveexec_b64 s[6:7], s[4:5]
	s_cbranch_execnz .LBB2_63
	s_branch .LBB2_64
.LBB2_321:
	s_movk_i32 s4, 0x80
	v_cmp_eq_u16_sdwa s[12:13], v6, s4 src0_sel:BYTE_0 src1_sel:DWORD
	s_mov_b64 s[4:5], -1
                                        ; implicit-def: $sgpr10
	s_and_saveexec_b64 s[8:9], s[12:13]
; %bb.322:
	s_mov_b32 s10, 0x7f800001
	s_xor_b64 s[4:5], exec, -1
; %bb.323:
	s_or_b64 exec, exec, s[8:9]
	s_and_b64 s[4:5], s[4:5], exec
	s_or_saveexec_b64 s[6:7], s[6:7]
	v_mov_b32_e32 v2, s10
	s_xor_b64 exec, exec, s[6:7]
	s_cbranch_execz .LBB2_66
.LBB2_324:
	v_mov_b32_e32 v2, 0
	v_cmp_ne_u16_sdwa s[8:9], v6, v2 src0_sel:BYTE_0 src1_sel:DWORD
	s_andn2_b64 s[4:5], s[4:5], exec
	s_and_b64 s[8:9], s[8:9], exec
	s_or_b64 s[4:5], s[4:5], s[8:9]
	s_or_b64 exec, exec, s[6:7]
	s_and_saveexec_b64 s[6:7], s[4:5]
	s_cbranch_execnz .LBB2_67
	s_branch .LBB2_68
.LBB2_325:
	s_movk_i32 s4, 0x80
	v_cmp_eq_u16_sdwa s[12:13], v6, s4 src0_sel:BYTE_1 src1_sel:DWORD
	s_mov_b64 s[4:5], -1
                                        ; implicit-def: $sgpr10
	s_and_saveexec_b64 s[8:9], s[12:13]
; %bb.326:
	s_mov_b32 s10, 0x7f800001
	s_xor_b64 s[4:5], exec, -1
; %bb.327:
	s_or_b64 exec, exec, s[8:9]
	s_and_b64 s[4:5], s[4:5], exec
	s_or_saveexec_b64 s[6:7], s[6:7]
	v_mov_b32_e32 v3, s10
	s_xor_b64 exec, exec, s[6:7]
	s_cbranch_execz .LBB2_70
.LBB2_328:
	v_mov_b32_e32 v3, 0
	v_cmp_ne_u16_sdwa s[8:9], v6, v3 src0_sel:BYTE_1 src1_sel:DWORD
	s_andn2_b64 s[4:5], s[4:5], exec
	s_and_b64 s[8:9], s[8:9], exec
	s_or_b64 s[4:5], s[4:5], s[8:9]
	s_or_b64 exec, exec, s[6:7]
	s_and_saveexec_b64 s[6:7], s[4:5]
	s_cbranch_execnz .LBB2_71
	s_branch .LBB2_72
.LBB2_329:
	s_movk_i32 s4, 0x80
	v_cmp_eq_u16_e32 vcc, s4, v13
	s_mov_b64 s[4:5], -1
                                        ; implicit-def: $sgpr10
	s_and_saveexec_b64 s[8:9], vcc
; %bb.330:
	s_mov_b32 s10, 0x7f800001
	s_xor_b64 s[4:5], exec, -1
; %bb.331:
	s_or_b64 exec, exec, s[8:9]
	s_and_b64 s[4:5], s[4:5], exec
                                        ; implicit-def: $vgpr13
	s_or_saveexec_b64 s[6:7], s[6:7]
	v_mov_b32_e32 v12, s10
	s_xor_b64 exec, exec, s[6:7]
	s_cbranch_execz .LBB2_74
.LBB2_332:
	v_cmp_ne_u16_e32 vcc, 0, v13
	s_andn2_b64 s[4:5], s[4:5], exec
	s_and_b64 s[8:9], vcc, exec
	v_mov_b32_e32 v12, 0
	s_or_b64 s[4:5], s[4:5], s[8:9]
	s_or_b64 exec, exec, s[6:7]
	s_and_saveexec_b64 s[6:7], s[4:5]
	s_cbranch_execnz .LBB2_75
	s_branch .LBB2_76
.LBB2_333:
	s_movk_i32 s4, 0x80
	v_cmp_eq_u16_e32 vcc, s4, v14
	s_mov_b64 s[4:5], -1
                                        ; implicit-def: $sgpr10
	s_and_saveexec_b64 s[8:9], vcc
; %bb.334:
	s_mov_b32 s10, 0x7f800001
	s_xor_b64 s[4:5], exec, -1
; %bb.335:
	s_or_b64 exec, exec, s[8:9]
	s_and_b64 s[4:5], s[4:5], exec
                                        ; implicit-def: $vgpr14
	s_or_saveexec_b64 s[6:7], s[6:7]
	v_mov_b32_e32 v13, s10
	s_xor_b64 exec, exec, s[6:7]
	s_cbranch_execz .LBB2_78
.LBB2_336:
	v_cmp_ne_u16_e32 vcc, 0, v14
	s_andn2_b64 s[4:5], s[4:5], exec
	s_and_b64 s[8:9], vcc, exec
	v_mov_b32_e32 v13, 0
	s_or_b64 s[4:5], s[4:5], s[8:9]
	s_or_b64 exec, exec, s[6:7]
	s_and_saveexec_b64 s[6:7], s[4:5]
	s_cbranch_execnz .LBB2_79
	s_branch .LBB2_80
.LBB2_337:
	s_movk_i32 s4, 0x80
	v_cmp_eq_u16_sdwa s[12:13], v7, s4 src0_sel:BYTE_0 src1_sel:DWORD
	s_mov_b64 s[4:5], -1
                                        ; implicit-def: $sgpr10
	s_and_saveexec_b64 s[8:9], s[12:13]
; %bb.338:
	s_mov_b32 s10, 0x7f800001
	s_xor_b64 s[4:5], exec, -1
; %bb.339:
	s_or_b64 exec, exec, s[8:9]
	s_and_b64 s[4:5], s[4:5], exec
	s_or_saveexec_b64 s[6:7], s[6:7]
	v_mov_b32_e32 v6, s10
	s_xor_b64 exec, exec, s[6:7]
	s_cbranch_execz .LBB2_82
.LBB2_340:
	v_mov_b32_e32 v6, 0
	v_cmp_ne_u16_sdwa s[8:9], v7, v6 src0_sel:BYTE_0 src1_sel:DWORD
	s_andn2_b64 s[4:5], s[4:5], exec
	s_and_b64 s[8:9], s[8:9], exec
	s_or_b64 s[4:5], s[4:5], s[8:9]
	s_or_b64 exec, exec, s[6:7]
	s_and_saveexec_b64 s[6:7], s[4:5]
	s_cbranch_execnz .LBB2_83
	s_branch .LBB2_84
.LBB2_341:
	s_movk_i32 s4, 0x80
	v_cmp_eq_u16_sdwa s[12:13], v7, s4 src0_sel:BYTE_1 src1_sel:DWORD
	s_mov_b64 s[4:5], -1
                                        ; implicit-def: $sgpr10
	s_and_saveexec_b64 s[8:9], s[12:13]
; %bb.342:
	s_mov_b32 s10, 0x7f800001
	s_xor_b64 s[4:5], exec, -1
; %bb.343:
	s_or_b64 exec, exec, s[8:9]
	s_and_b64 s[4:5], s[4:5], exec
	s_or_saveexec_b64 s[6:7], s[6:7]
	v_mov_b32_e32 v14, s10
	s_xor_b64 exec, exec, s[6:7]
	s_cbranch_execz .LBB2_86
.LBB2_344:
	v_mov_b32_e32 v14, 0
	v_cmp_ne_u16_sdwa s[8:9], v7, v14 src0_sel:BYTE_1 src1_sel:DWORD
	s_andn2_b64 s[4:5], s[4:5], exec
	s_and_b64 s[8:9], s[8:9], exec
	s_or_b64 s[4:5], s[4:5], s[8:9]
	s_or_b64 exec, exec, s[6:7]
	s_and_saveexec_b64 s[6:7], s[4:5]
	s_cbranch_execnz .LBB2_87
	s_branch .LBB2_88
.LBB2_345:
	s_movk_i32 s4, 0x80
	v_cmp_eq_u16_e32 vcc, s4, v16
	s_mov_b64 s[4:5], -1
                                        ; implicit-def: $sgpr10
	s_and_saveexec_b64 s[8:9], vcc
; %bb.346:
	s_mov_b32 s10, 0x7f800001
	s_xor_b64 s[4:5], exec, -1
; %bb.347:
	s_or_b64 exec, exec, s[8:9]
	s_and_b64 s[4:5], s[4:5], exec
                                        ; implicit-def: $vgpr16
	s_or_saveexec_b64 s[6:7], s[6:7]
	v_mov_b32_e32 v15, s10
	s_xor_b64 exec, exec, s[6:7]
	s_cbranch_execz .LBB2_90
.LBB2_348:
	v_cmp_ne_u16_e32 vcc, 0, v16
	s_andn2_b64 s[4:5], s[4:5], exec
	s_and_b64 s[8:9], vcc, exec
	v_mov_b32_e32 v15, 0
	s_or_b64 s[4:5], s[4:5], s[8:9]
	s_or_b64 exec, exec, s[6:7]
	s_and_saveexec_b64 s[6:7], s[4:5]
	s_cbranch_execnz .LBB2_91
	s_branch .LBB2_92
.LBB2_349:
	s_movk_i32 s4, 0x80
	v_cmp_eq_u16_e32 vcc, s4, v17
	s_mov_b64 s[4:5], -1
                                        ; implicit-def: $sgpr10
	s_and_saveexec_b64 s[8:9], vcc
; %bb.350:
	s_mov_b32 s10, 0x7f800001
	s_xor_b64 s[4:5], exec, -1
; %bb.351:
	s_or_b64 exec, exec, s[8:9]
	s_and_b64 s[4:5], s[4:5], exec
                                        ; implicit-def: $vgpr17
	s_or_saveexec_b64 s[6:7], s[6:7]
	v_mov_b32_e32 v16, s10
	s_xor_b64 exec, exec, s[6:7]
	s_cbranch_execz .LBB2_94
.LBB2_352:
	v_cmp_ne_u16_e32 vcc, 0, v17
	s_andn2_b64 s[4:5], s[4:5], exec
	s_and_b64 s[8:9], vcc, exec
	v_mov_b32_e32 v16, 0
	s_or_b64 s[4:5], s[4:5], s[8:9]
	s_or_b64 exec, exec, s[6:7]
	s_and_saveexec_b64 s[6:7], s[4:5]
	s_cbranch_execnz .LBB2_95
	s_branch .LBB2_96
.LBB2_353:
	s_movk_i32 s4, 0x80
	v_cmp_eq_u16_sdwa s[12:13], v8, s4 src0_sel:BYTE_0 src1_sel:DWORD
	s_mov_b64 s[4:5], -1
                                        ; implicit-def: $sgpr10
	s_and_saveexec_b64 s[8:9], s[12:13]
; %bb.354:
	s_mov_b32 s10, 0x7f800001
	s_xor_b64 s[4:5], exec, -1
; %bb.355:
	s_or_b64 exec, exec, s[8:9]
	s_and_b64 s[4:5], s[4:5], exec
	s_or_saveexec_b64 s[6:7], s[6:7]
	v_mov_b32_e32 v7, s10
	s_xor_b64 exec, exec, s[6:7]
	s_cbranch_execz .LBB2_98
.LBB2_356:
	v_mov_b32_e32 v7, 0
	v_cmp_ne_u16_sdwa s[8:9], v8, v7 src0_sel:BYTE_0 src1_sel:DWORD
	s_andn2_b64 s[4:5], s[4:5], exec
	s_and_b64 s[8:9], s[8:9], exec
	s_or_b64 s[4:5], s[4:5], s[8:9]
	s_or_b64 exec, exec, s[6:7]
	s_and_saveexec_b64 s[6:7], s[4:5]
	s_cbranch_execnz .LBB2_99
	s_branch .LBB2_100
.LBB2_357:
	s_movk_i32 s4, 0x80
	v_cmp_eq_u16_sdwa s[12:13], v8, s4 src0_sel:BYTE_1 src1_sel:DWORD
	s_mov_b64 s[4:5], -1
                                        ; implicit-def: $sgpr10
	s_and_saveexec_b64 s[8:9], s[12:13]
; %bb.358:
	s_mov_b32 s10, 0x7f800001
	s_xor_b64 s[4:5], exec, -1
; %bb.359:
	s_or_b64 exec, exec, s[8:9]
	s_and_b64 s[4:5], s[4:5], exec
	s_or_saveexec_b64 s[6:7], s[6:7]
	v_mov_b32_e32 v17, s10
	s_xor_b64 exec, exec, s[6:7]
	s_cbranch_execz .LBB2_102
.LBB2_360:
	v_mov_b32_e32 v17, 0
	v_cmp_ne_u16_sdwa s[8:9], v8, v17 src0_sel:BYTE_1 src1_sel:DWORD
	s_andn2_b64 s[4:5], s[4:5], exec
	s_and_b64 s[8:9], s[8:9], exec
	s_or_b64 s[4:5], s[4:5], s[8:9]
	s_or_b64 exec, exec, s[6:7]
	s_and_saveexec_b64 s[6:7], s[4:5]
	s_cbranch_execnz .LBB2_103
	s_branch .LBB2_104
.LBB2_361:
	s_movk_i32 s4, 0x80
	v_cmp_eq_u16_e32 vcc, s4, v19
	s_mov_b64 s[4:5], -1
                                        ; implicit-def: $sgpr10
	s_and_saveexec_b64 s[8:9], vcc
; %bb.362:
	s_mov_b32 s10, 0x7f800001
	s_xor_b64 s[4:5], exec, -1
; %bb.363:
	s_or_b64 exec, exec, s[8:9]
	s_and_b64 s[4:5], s[4:5], exec
                                        ; implicit-def: $vgpr19
	s_or_saveexec_b64 s[6:7], s[6:7]
	v_mov_b32_e32 v18, s10
	s_xor_b64 exec, exec, s[6:7]
	s_cbranch_execz .LBB2_106
.LBB2_364:
	v_cmp_ne_u16_e32 vcc, 0, v19
	s_andn2_b64 s[4:5], s[4:5], exec
	s_and_b64 s[8:9], vcc, exec
	v_mov_b32_e32 v18, 0
	s_or_b64 s[4:5], s[4:5], s[8:9]
	s_or_b64 exec, exec, s[6:7]
	s_and_saveexec_b64 s[6:7], s[4:5]
	s_cbranch_execnz .LBB2_107
	s_branch .LBB2_108
.LBB2_365:
	s_movk_i32 s4, 0x80
	v_cmp_eq_u16_e32 vcc, s4, v20
	s_mov_b64 s[4:5], -1
                                        ; implicit-def: $sgpr10
	s_and_saveexec_b64 s[8:9], vcc
; %bb.366:
	s_mov_b32 s10, 0x7f800001
	s_xor_b64 s[4:5], exec, -1
; %bb.367:
	s_or_b64 exec, exec, s[8:9]
	s_and_b64 s[4:5], s[4:5], exec
                                        ; implicit-def: $vgpr20
	s_or_saveexec_b64 s[6:7], s[6:7]
	v_mov_b32_e32 v19, s10
	s_xor_b64 exec, exec, s[6:7]
	s_cbranch_execz .LBB2_110
.LBB2_368:
	v_cmp_ne_u16_e32 vcc, 0, v20
	s_andn2_b64 s[4:5], s[4:5], exec
	s_and_b64 s[8:9], vcc, exec
	v_mov_b32_e32 v19, 0
	s_or_b64 s[4:5], s[4:5], s[8:9]
	s_or_b64 exec, exec, s[6:7]
	s_and_saveexec_b64 s[6:7], s[4:5]
	s_cbranch_execnz .LBB2_111
	s_branch .LBB2_112
.LBB2_369:
	s_movk_i32 s4, 0x80
	v_cmp_eq_u16_sdwa s[12:13], v9, s4 src0_sel:BYTE_0 src1_sel:DWORD
	s_mov_b64 s[4:5], -1
                                        ; implicit-def: $sgpr10
	s_and_saveexec_b64 s[8:9], s[12:13]
; %bb.370:
	s_mov_b32 s10, 0x7f800001
	s_xor_b64 s[4:5], exec, -1
; %bb.371:
	s_or_b64 exec, exec, s[8:9]
	s_and_b64 s[4:5], s[4:5], exec
	s_or_saveexec_b64 s[6:7], s[6:7]
	v_mov_b32_e32 v8, s10
	s_xor_b64 exec, exec, s[6:7]
	s_cbranch_execz .LBB2_114
.LBB2_372:
	v_mov_b32_e32 v8, 0
	v_cmp_ne_u16_sdwa s[8:9], v9, v8 src0_sel:BYTE_0 src1_sel:DWORD
	s_andn2_b64 s[4:5], s[4:5], exec
	s_and_b64 s[8:9], s[8:9], exec
	s_or_b64 s[4:5], s[4:5], s[8:9]
	s_or_b64 exec, exec, s[6:7]
	s_and_saveexec_b64 s[6:7], s[4:5]
	s_cbranch_execnz .LBB2_115
	s_branch .LBB2_116
.LBB2_373:
	s_movk_i32 s4, 0x80
	v_cmp_eq_u16_sdwa s[12:13], v9, s4 src0_sel:BYTE_1 src1_sel:DWORD
	s_mov_b64 s[4:5], -1
                                        ; implicit-def: $sgpr10
	s_and_saveexec_b64 s[8:9], s[12:13]
; %bb.374:
	s_mov_b32 s10, 0x7f800001
	s_xor_b64 s[4:5], exec, -1
; %bb.375:
	s_or_b64 exec, exec, s[8:9]
	s_and_b64 s[4:5], s[4:5], exec
	s_or_saveexec_b64 s[6:7], s[6:7]
	v_mov_b32_e32 v20, s10
	s_xor_b64 exec, exec, s[6:7]
	s_cbranch_execz .LBB2_118
.LBB2_376:
	v_mov_b32_e32 v20, 0
	v_cmp_ne_u16_sdwa s[8:9], v9, v20 src0_sel:BYTE_1 src1_sel:DWORD
	s_andn2_b64 s[4:5], s[4:5], exec
	s_and_b64 s[8:9], s[8:9], exec
	s_or_b64 s[4:5], s[4:5], s[8:9]
	s_or_b64 exec, exec, s[6:7]
	s_and_saveexec_b64 s[6:7], s[4:5]
	s_cbranch_execnz .LBB2_119
	s_branch .LBB2_120
.LBB2_377:
	s_movk_i32 s4, 0x80
	v_cmp_eq_u16_e32 vcc, s4, v22
	s_mov_b64 s[4:5], -1
                                        ; implicit-def: $sgpr10
	s_and_saveexec_b64 s[8:9], vcc
; %bb.378:
	s_mov_b32 s10, 0x7f800001
	s_xor_b64 s[4:5], exec, -1
; %bb.379:
	s_or_b64 exec, exec, s[8:9]
	s_and_b64 s[4:5], s[4:5], exec
                                        ; implicit-def: $vgpr22
	s_or_saveexec_b64 s[6:7], s[6:7]
	v_mov_b32_e32 v21, s10
	s_xor_b64 exec, exec, s[6:7]
	s_cbranch_execz .LBB2_122
.LBB2_380:
	v_cmp_ne_u16_e32 vcc, 0, v22
	s_andn2_b64 s[4:5], s[4:5], exec
	s_and_b64 s[8:9], vcc, exec
	v_mov_b32_e32 v21, 0
	s_or_b64 s[4:5], s[4:5], s[8:9]
	s_or_b64 exec, exec, s[6:7]
	s_and_saveexec_b64 s[6:7], s[4:5]
	s_cbranch_execnz .LBB2_123
	s_branch .LBB2_124
.LBB2_381:
	s_movk_i32 s4, 0x80
	v_cmp_eq_u16_e32 vcc, s4, v23
	s_mov_b64 s[4:5], -1
                                        ; implicit-def: $sgpr10
	s_and_saveexec_b64 s[8:9], vcc
; %bb.382:
	s_mov_b32 s10, 0x7f800001
	s_xor_b64 s[4:5], exec, -1
; %bb.383:
	s_or_b64 exec, exec, s[8:9]
	s_and_b64 s[4:5], s[4:5], exec
                                        ; implicit-def: $vgpr23
	s_or_saveexec_b64 s[6:7], s[6:7]
	v_mov_b32_e32 v22, s10
	s_xor_b64 exec, exec, s[6:7]
	s_cbranch_execz .LBB2_126
.LBB2_384:
	v_cmp_ne_u16_e32 vcc, 0, v23
	s_andn2_b64 s[4:5], s[4:5], exec
	s_and_b64 s[8:9], vcc, exec
	v_mov_b32_e32 v22, 0
	s_or_b64 s[4:5], s[4:5], s[8:9]
	s_or_b64 exec, exec, s[6:7]
	s_and_saveexec_b64 s[6:7], s[4:5]
	s_cbranch_execnz .LBB2_127
	s_branch .LBB2_128
.LBB2_385:
	s_movk_i32 s4, 0x80
	v_cmp_eq_u16_sdwa s[12:13], v6, s4 src0_sel:BYTE_0 src1_sel:DWORD
	s_mov_b64 s[4:5], -1
                                        ; implicit-def: $sgpr10
	s_and_saveexec_b64 s[8:9], s[12:13]
; %bb.386:
	s_mov_b32 s10, 0x7f800001
	s_xor_b64 s[4:5], exec, -1
; %bb.387:
	s_or_b64 exec, exec, s[8:9]
	s_and_b64 s[4:5], s[4:5], exec
	s_or_saveexec_b64 s[6:7], s[6:7]
	v_mov_b32_e32 v2, s10
	s_xor_b64 exec, exec, s[6:7]
	s_cbranch_execz .LBB2_130
.LBB2_388:
	v_mov_b32_e32 v2, 0
	v_cmp_ne_u16_sdwa s[8:9], v6, v2 src0_sel:BYTE_0 src1_sel:DWORD
	s_andn2_b64 s[4:5], s[4:5], exec
	s_and_b64 s[8:9], s[8:9], exec
	s_or_b64 s[4:5], s[4:5], s[8:9]
	s_or_b64 exec, exec, s[6:7]
	s_and_saveexec_b64 s[6:7], s[4:5]
	s_cbranch_execnz .LBB2_131
	s_branch .LBB2_132
.LBB2_389:
	s_movk_i32 s4, 0x80
	v_cmp_eq_u16_sdwa s[12:13], v6, s4 src0_sel:BYTE_1 src1_sel:DWORD
	s_mov_b64 s[4:5], -1
                                        ; implicit-def: $sgpr10
	s_and_saveexec_b64 s[8:9], s[12:13]
; %bb.390:
	s_mov_b32 s10, 0x7f800001
	s_xor_b64 s[4:5], exec, -1
; %bb.391:
	s_or_b64 exec, exec, s[8:9]
	s_and_b64 s[4:5], s[4:5], exec
	s_or_saveexec_b64 s[6:7], s[6:7]
	v_mov_b32_e32 v3, s10
	s_xor_b64 exec, exec, s[6:7]
	s_cbranch_execz .LBB2_134
.LBB2_392:
	v_mov_b32_e32 v3, 0
	v_cmp_ne_u16_sdwa s[8:9], v6, v3 src0_sel:BYTE_1 src1_sel:DWORD
	s_andn2_b64 s[4:5], s[4:5], exec
	s_and_b64 s[8:9], s[8:9], exec
	s_or_b64 s[4:5], s[4:5], s[8:9]
	s_or_b64 exec, exec, s[6:7]
	s_and_saveexec_b64 s[6:7], s[4:5]
	s_cbranch_execnz .LBB2_135
	s_branch .LBB2_136
.LBB2_393:
	s_movk_i32 s4, 0x80
	v_cmp_eq_u16_e32 vcc, s4, v13
	s_mov_b64 s[4:5], -1
                                        ; implicit-def: $sgpr10
	s_and_saveexec_b64 s[8:9], vcc
; %bb.394:
	s_mov_b32 s10, 0x7f800001
	s_xor_b64 s[4:5], exec, -1
; %bb.395:
	s_or_b64 exec, exec, s[8:9]
	s_and_b64 s[4:5], s[4:5], exec
                                        ; implicit-def: $vgpr13
	s_or_saveexec_b64 s[6:7], s[6:7]
	v_mov_b32_e32 v12, s10
	s_xor_b64 exec, exec, s[6:7]
	s_cbranch_execz .LBB2_138
.LBB2_396:
	v_cmp_ne_u16_e32 vcc, 0, v13
	s_andn2_b64 s[4:5], s[4:5], exec
	s_and_b64 s[8:9], vcc, exec
	v_mov_b32_e32 v12, 0
	s_or_b64 s[4:5], s[4:5], s[8:9]
	s_or_b64 exec, exec, s[6:7]
	s_and_saveexec_b64 s[6:7], s[4:5]
	s_cbranch_execnz .LBB2_139
	s_branch .LBB2_140
.LBB2_397:
	s_movk_i32 s4, 0x80
	v_cmp_eq_u16_e32 vcc, s4, v14
	s_mov_b64 s[4:5], -1
                                        ; implicit-def: $sgpr10
	s_and_saveexec_b64 s[8:9], vcc
; %bb.398:
	s_mov_b32 s10, 0x7f800001
	s_xor_b64 s[4:5], exec, -1
; %bb.399:
	s_or_b64 exec, exec, s[8:9]
	s_and_b64 s[4:5], s[4:5], exec
                                        ; implicit-def: $vgpr14
	s_or_saveexec_b64 s[6:7], s[6:7]
	v_mov_b32_e32 v13, s10
	s_xor_b64 exec, exec, s[6:7]
	s_cbranch_execz .LBB2_142
.LBB2_400:
	v_cmp_ne_u16_e32 vcc, 0, v14
	s_andn2_b64 s[4:5], s[4:5], exec
	s_and_b64 s[8:9], vcc, exec
	v_mov_b32_e32 v13, 0
	s_or_b64 s[4:5], s[4:5], s[8:9]
	s_or_b64 exec, exec, s[6:7]
	s_and_saveexec_b64 s[6:7], s[4:5]
	s_cbranch_execnz .LBB2_143
	s_branch .LBB2_144
.LBB2_401:
	s_movk_i32 s4, 0x80
	v_cmp_eq_u16_sdwa s[12:13], v7, s4 src0_sel:BYTE_0 src1_sel:DWORD
	s_mov_b64 s[4:5], -1
                                        ; implicit-def: $sgpr10
	s_and_saveexec_b64 s[8:9], s[12:13]
; %bb.402:
	s_mov_b32 s10, 0x7f800001
	s_xor_b64 s[4:5], exec, -1
; %bb.403:
	s_or_b64 exec, exec, s[8:9]
	s_and_b64 s[4:5], s[4:5], exec
	s_or_saveexec_b64 s[6:7], s[6:7]
	v_mov_b32_e32 v6, s10
	s_xor_b64 exec, exec, s[6:7]
	s_cbranch_execz .LBB2_146
.LBB2_404:
	v_mov_b32_e32 v6, 0
	v_cmp_ne_u16_sdwa s[8:9], v7, v6 src0_sel:BYTE_0 src1_sel:DWORD
	s_andn2_b64 s[4:5], s[4:5], exec
	s_and_b64 s[8:9], s[8:9], exec
	s_or_b64 s[4:5], s[4:5], s[8:9]
	s_or_b64 exec, exec, s[6:7]
	s_and_saveexec_b64 s[6:7], s[4:5]
	s_cbranch_execnz .LBB2_147
	s_branch .LBB2_148
.LBB2_405:
	s_movk_i32 s4, 0x80
	v_cmp_eq_u16_sdwa s[12:13], v7, s4 src0_sel:BYTE_1 src1_sel:DWORD
	s_mov_b64 s[4:5], -1
                                        ; implicit-def: $sgpr10
	s_and_saveexec_b64 s[8:9], s[12:13]
; %bb.406:
	s_mov_b32 s10, 0x7f800001
	s_xor_b64 s[4:5], exec, -1
; %bb.407:
	s_or_b64 exec, exec, s[8:9]
	s_and_b64 s[4:5], s[4:5], exec
	s_or_saveexec_b64 s[6:7], s[6:7]
	v_mov_b32_e32 v14, s10
	s_xor_b64 exec, exec, s[6:7]
	s_cbranch_execz .LBB2_150
.LBB2_408:
	v_mov_b32_e32 v14, 0
	v_cmp_ne_u16_sdwa s[8:9], v7, v14 src0_sel:BYTE_1 src1_sel:DWORD
	s_andn2_b64 s[4:5], s[4:5], exec
	s_and_b64 s[8:9], s[8:9], exec
	s_or_b64 s[4:5], s[4:5], s[8:9]
	s_or_b64 exec, exec, s[6:7]
	s_and_saveexec_b64 s[6:7], s[4:5]
	s_cbranch_execnz .LBB2_151
	s_branch .LBB2_152
.LBB2_409:
	s_movk_i32 s4, 0x80
	v_cmp_eq_u16_e32 vcc, s4, v16
	s_mov_b64 s[4:5], -1
                                        ; implicit-def: $sgpr10
	s_and_saveexec_b64 s[8:9], vcc
; %bb.410:
	s_mov_b32 s10, 0x7f800001
	s_xor_b64 s[4:5], exec, -1
; %bb.411:
	s_or_b64 exec, exec, s[8:9]
	s_and_b64 s[4:5], s[4:5], exec
                                        ; implicit-def: $vgpr16
	s_or_saveexec_b64 s[6:7], s[6:7]
	v_mov_b32_e32 v15, s10
	s_xor_b64 exec, exec, s[6:7]
	s_cbranch_execz .LBB2_154
.LBB2_412:
	v_cmp_ne_u16_e32 vcc, 0, v16
	s_andn2_b64 s[4:5], s[4:5], exec
	s_and_b64 s[8:9], vcc, exec
	v_mov_b32_e32 v15, 0
	s_or_b64 s[4:5], s[4:5], s[8:9]
	s_or_b64 exec, exec, s[6:7]
	s_and_saveexec_b64 s[6:7], s[4:5]
	s_cbranch_execnz .LBB2_155
	s_branch .LBB2_156
.LBB2_413:
	s_movk_i32 s4, 0x80
	v_cmp_eq_u16_e32 vcc, s4, v17
	s_mov_b64 s[4:5], -1
                                        ; implicit-def: $sgpr10
	s_and_saveexec_b64 s[8:9], vcc
; %bb.414:
	s_mov_b32 s10, 0x7f800001
	s_xor_b64 s[4:5], exec, -1
; %bb.415:
	s_or_b64 exec, exec, s[8:9]
	s_and_b64 s[4:5], s[4:5], exec
                                        ; implicit-def: $vgpr17
	s_or_saveexec_b64 s[6:7], s[6:7]
	v_mov_b32_e32 v16, s10
	s_xor_b64 exec, exec, s[6:7]
	s_cbranch_execz .LBB2_158
.LBB2_416:
	v_cmp_ne_u16_e32 vcc, 0, v17
	s_andn2_b64 s[4:5], s[4:5], exec
	s_and_b64 s[8:9], vcc, exec
	v_mov_b32_e32 v16, 0
	s_or_b64 s[4:5], s[4:5], s[8:9]
	s_or_b64 exec, exec, s[6:7]
	s_and_saveexec_b64 s[6:7], s[4:5]
	s_cbranch_execnz .LBB2_159
	s_branch .LBB2_160
.LBB2_417:
	s_movk_i32 s4, 0x80
	v_cmp_eq_u16_sdwa s[12:13], v8, s4 src0_sel:BYTE_0 src1_sel:DWORD
	s_mov_b64 s[4:5], -1
                                        ; implicit-def: $sgpr10
	s_and_saveexec_b64 s[8:9], s[12:13]
; %bb.418:
	s_mov_b32 s10, 0x7f800001
	s_xor_b64 s[4:5], exec, -1
; %bb.419:
	s_or_b64 exec, exec, s[8:9]
	s_and_b64 s[4:5], s[4:5], exec
	s_or_saveexec_b64 s[6:7], s[6:7]
	v_mov_b32_e32 v7, s10
	s_xor_b64 exec, exec, s[6:7]
	s_cbranch_execz .LBB2_162
.LBB2_420:
	v_mov_b32_e32 v7, 0
	v_cmp_ne_u16_sdwa s[8:9], v8, v7 src0_sel:BYTE_0 src1_sel:DWORD
	s_andn2_b64 s[4:5], s[4:5], exec
	s_and_b64 s[8:9], s[8:9], exec
	s_or_b64 s[4:5], s[4:5], s[8:9]
	s_or_b64 exec, exec, s[6:7]
	s_and_saveexec_b64 s[6:7], s[4:5]
	s_cbranch_execnz .LBB2_163
	s_branch .LBB2_164
.LBB2_421:
	s_movk_i32 s4, 0x80
	v_cmp_eq_u16_sdwa s[12:13], v8, s4 src0_sel:BYTE_1 src1_sel:DWORD
	s_mov_b64 s[4:5], -1
                                        ; implicit-def: $sgpr10
	s_and_saveexec_b64 s[8:9], s[12:13]
; %bb.422:
	s_mov_b32 s10, 0x7f800001
	s_xor_b64 s[4:5], exec, -1
; %bb.423:
	s_or_b64 exec, exec, s[8:9]
	s_and_b64 s[4:5], s[4:5], exec
	s_or_saveexec_b64 s[6:7], s[6:7]
	v_mov_b32_e32 v17, s10
	s_xor_b64 exec, exec, s[6:7]
	s_cbranch_execz .LBB2_166
.LBB2_424:
	v_mov_b32_e32 v17, 0
	v_cmp_ne_u16_sdwa s[8:9], v8, v17 src0_sel:BYTE_1 src1_sel:DWORD
	s_andn2_b64 s[4:5], s[4:5], exec
	s_and_b64 s[8:9], s[8:9], exec
	s_or_b64 s[4:5], s[4:5], s[8:9]
	s_or_b64 exec, exec, s[6:7]
	s_and_saveexec_b64 s[6:7], s[4:5]
	s_cbranch_execnz .LBB2_167
	s_branch .LBB2_168
.LBB2_425:
	s_movk_i32 s4, 0x80
	v_cmp_eq_u16_e32 vcc, s4, v19
	s_mov_b64 s[4:5], -1
                                        ; implicit-def: $sgpr10
	s_and_saveexec_b64 s[8:9], vcc
; %bb.426:
	s_mov_b32 s10, 0x7f800001
	s_xor_b64 s[4:5], exec, -1
; %bb.427:
	s_or_b64 exec, exec, s[8:9]
	s_and_b64 s[4:5], s[4:5], exec
                                        ; implicit-def: $vgpr19
	s_or_saveexec_b64 s[6:7], s[6:7]
	v_mov_b32_e32 v18, s10
	s_xor_b64 exec, exec, s[6:7]
	s_cbranch_execz .LBB2_170
.LBB2_428:
	v_cmp_ne_u16_e32 vcc, 0, v19
	s_andn2_b64 s[4:5], s[4:5], exec
	s_and_b64 s[8:9], vcc, exec
	v_mov_b32_e32 v18, 0
	s_or_b64 s[4:5], s[4:5], s[8:9]
	s_or_b64 exec, exec, s[6:7]
	s_and_saveexec_b64 s[6:7], s[4:5]
	s_cbranch_execnz .LBB2_171
	s_branch .LBB2_172
.LBB2_429:
	s_movk_i32 s4, 0x80
	v_cmp_eq_u16_e32 vcc, s4, v20
	s_mov_b64 s[4:5], -1
                                        ; implicit-def: $sgpr10
	s_and_saveexec_b64 s[8:9], vcc
; %bb.430:
	s_mov_b32 s10, 0x7f800001
	s_xor_b64 s[4:5], exec, -1
; %bb.431:
	s_or_b64 exec, exec, s[8:9]
	s_and_b64 s[4:5], s[4:5], exec
                                        ; implicit-def: $vgpr20
	s_or_saveexec_b64 s[6:7], s[6:7]
	v_mov_b32_e32 v19, s10
	s_xor_b64 exec, exec, s[6:7]
	s_cbranch_execz .LBB2_174
.LBB2_432:
	v_cmp_ne_u16_e32 vcc, 0, v20
	s_andn2_b64 s[4:5], s[4:5], exec
	s_and_b64 s[8:9], vcc, exec
	v_mov_b32_e32 v19, 0
	s_or_b64 s[4:5], s[4:5], s[8:9]
	s_or_b64 exec, exec, s[6:7]
	s_and_saveexec_b64 s[6:7], s[4:5]
	s_cbranch_execnz .LBB2_175
	s_branch .LBB2_176
.LBB2_433:
	s_movk_i32 s4, 0x80
	v_cmp_eq_u16_sdwa s[12:13], v9, s4 src0_sel:BYTE_0 src1_sel:DWORD
	s_mov_b64 s[4:5], -1
                                        ; implicit-def: $sgpr10
	s_and_saveexec_b64 s[8:9], s[12:13]
; %bb.434:
	s_mov_b32 s10, 0x7f800001
	s_xor_b64 s[4:5], exec, -1
; %bb.435:
	s_or_b64 exec, exec, s[8:9]
	s_and_b64 s[4:5], s[4:5], exec
	s_or_saveexec_b64 s[6:7], s[6:7]
	v_mov_b32_e32 v8, s10
	s_xor_b64 exec, exec, s[6:7]
	s_cbranch_execz .LBB2_178
.LBB2_436:
	v_mov_b32_e32 v8, 0
	v_cmp_ne_u16_sdwa s[8:9], v9, v8 src0_sel:BYTE_0 src1_sel:DWORD
	s_andn2_b64 s[4:5], s[4:5], exec
	s_and_b64 s[8:9], s[8:9], exec
	s_or_b64 s[4:5], s[4:5], s[8:9]
	s_or_b64 exec, exec, s[6:7]
	s_and_saveexec_b64 s[6:7], s[4:5]
	s_cbranch_execnz .LBB2_179
	s_branch .LBB2_180
.LBB2_437:
	s_movk_i32 s4, 0x80
	v_cmp_eq_u16_sdwa s[12:13], v9, s4 src0_sel:BYTE_1 src1_sel:DWORD
	s_mov_b64 s[4:5], -1
                                        ; implicit-def: $sgpr10
	s_and_saveexec_b64 s[8:9], s[12:13]
; %bb.438:
	s_mov_b32 s10, 0x7f800001
	s_xor_b64 s[4:5], exec, -1
; %bb.439:
	s_or_b64 exec, exec, s[8:9]
	s_and_b64 s[4:5], s[4:5], exec
	s_or_saveexec_b64 s[6:7], s[6:7]
	v_mov_b32_e32 v20, s10
	s_xor_b64 exec, exec, s[6:7]
	s_cbranch_execz .LBB2_182
.LBB2_440:
	v_mov_b32_e32 v20, 0
	v_cmp_ne_u16_sdwa s[8:9], v9, v20 src0_sel:BYTE_1 src1_sel:DWORD
	s_andn2_b64 s[4:5], s[4:5], exec
	s_and_b64 s[8:9], s[8:9], exec
	s_or_b64 s[4:5], s[4:5], s[8:9]
	s_or_b64 exec, exec, s[6:7]
	s_and_saveexec_b64 s[6:7], s[4:5]
	s_cbranch_execnz .LBB2_183
	s_branch .LBB2_184
.LBB2_441:
	s_movk_i32 s4, 0x80
	v_cmp_eq_u16_e32 vcc, s4, v22
	s_mov_b64 s[4:5], -1
                                        ; implicit-def: $sgpr10
	s_and_saveexec_b64 s[8:9], vcc
; %bb.442:
	s_mov_b32 s10, 0x7f800001
	s_xor_b64 s[4:5], exec, -1
; %bb.443:
	s_or_b64 exec, exec, s[8:9]
	s_and_b64 s[4:5], s[4:5], exec
                                        ; implicit-def: $vgpr22
	s_or_saveexec_b64 s[6:7], s[6:7]
	v_mov_b32_e32 v21, s10
	s_xor_b64 exec, exec, s[6:7]
	s_cbranch_execz .LBB2_186
.LBB2_444:
	v_cmp_ne_u16_e32 vcc, 0, v22
	s_andn2_b64 s[4:5], s[4:5], exec
	s_and_b64 s[8:9], vcc, exec
	v_mov_b32_e32 v21, 0
	s_or_b64 s[4:5], s[4:5], s[8:9]
	s_or_b64 exec, exec, s[6:7]
	s_and_saveexec_b64 s[6:7], s[4:5]
	s_cbranch_execnz .LBB2_187
	s_branch .LBB2_188
.LBB2_445:
	s_movk_i32 s4, 0x80
	v_cmp_eq_u16_e32 vcc, s4, v23
	s_mov_b64 s[4:5], -1
                                        ; implicit-def: $sgpr10
	s_and_saveexec_b64 s[8:9], vcc
; %bb.446:
	s_mov_b32 s10, 0x7f800001
	s_xor_b64 s[4:5], exec, -1
; %bb.447:
	s_or_b64 exec, exec, s[8:9]
	s_and_b64 s[4:5], s[4:5], exec
                                        ; implicit-def: $vgpr23
	s_or_saveexec_b64 s[6:7], s[6:7]
	v_mov_b32_e32 v22, s10
	s_xor_b64 exec, exec, s[6:7]
	s_cbranch_execz .LBB2_190
.LBB2_448:
	v_cmp_ne_u16_e32 vcc, 0, v23
	s_andn2_b64 s[4:5], s[4:5], exec
	s_and_b64 s[8:9], vcc, exec
	v_mov_b32_e32 v22, 0
	s_or_b64 s[4:5], s[4:5], s[8:9]
	s_or_b64 exec, exec, s[6:7]
	s_and_saveexec_b64 s[6:7], s[4:5]
	s_cbranch_execnz .LBB2_191
	s_branch .LBB2_192
.LBB2_449:
	s_movk_i32 s4, 0x80
	v_cmp_eq_u16_sdwa s[12:13], v0, s4 src0_sel:BYTE_0 src1_sel:DWORD
	s_mov_b64 s[4:5], -1
                                        ; implicit-def: $sgpr10
	s_and_saveexec_b64 s[8:9], s[12:13]
; %bb.450:
	s_mov_b32 s10, 0x7f800001
	s_xor_b64 s[4:5], exec, -1
; %bb.451:
	s_or_b64 exec, exec, s[8:9]
	s_and_b64 s[4:5], s[4:5], exec
	s_or_saveexec_b64 s[6:7], s[6:7]
	v_mov_b32_e32 v6, s10
	s_xor_b64 exec, exec, s[6:7]
	s_cbranch_execz .LBB2_194
.LBB2_452:
	v_mov_b32_e32 v6, 0
	v_cmp_ne_u16_sdwa s[8:9], v0, v6 src0_sel:BYTE_0 src1_sel:DWORD
	s_andn2_b64 s[4:5], s[4:5], exec
	s_and_b64 s[8:9], s[8:9], exec
	s_or_b64 s[4:5], s[4:5], s[8:9]
	s_or_b64 exec, exec, s[6:7]
	s_and_saveexec_b64 s[6:7], s[4:5]
	s_cbranch_execnz .LBB2_195
	s_branch .LBB2_196
.LBB2_453:
	s_movk_i32 s4, 0x80
	v_cmp_eq_u16_sdwa s[12:13], v0, s4 src0_sel:BYTE_1 src1_sel:DWORD
	s_mov_b64 s[4:5], -1
                                        ; implicit-def: $sgpr10
	s_and_saveexec_b64 s[8:9], s[12:13]
; %bb.454:
	s_mov_b32 s10, 0x7f800001
	s_xor_b64 s[4:5], exec, -1
; %bb.455:
	s_or_b64 exec, exec, s[8:9]
	s_and_b64 s[4:5], s[4:5], exec
	s_or_saveexec_b64 s[6:7], s[6:7]
	v_mov_b32_e32 v7, s10
	s_xor_b64 exec, exec, s[6:7]
	s_cbranch_execz .LBB2_198
.LBB2_456:
	v_mov_b32_e32 v7, 0
	v_cmp_ne_u16_sdwa s[8:9], v0, v7 src0_sel:BYTE_1 src1_sel:DWORD
	s_andn2_b64 s[4:5], s[4:5], exec
	s_and_b64 s[8:9], s[8:9], exec
	s_or_b64 s[4:5], s[4:5], s[8:9]
	s_or_b64 exec, exec, s[6:7]
	s_and_saveexec_b64 s[6:7], s[4:5]
	s_cbranch_execnz .LBB2_199
	s_branch .LBB2_200
.LBB2_457:
	s_movk_i32 s4, 0x80
	v_cmp_eq_u16_e32 vcc, s4, v9
	s_mov_b64 s[4:5], -1
                                        ; implicit-def: $sgpr10
	s_and_saveexec_b64 s[8:9], vcc
; %bb.458:
	s_mov_b32 s10, 0x7f800001
	s_xor_b64 s[4:5], exec, -1
; %bb.459:
	s_or_b64 exec, exec, s[8:9]
	s_and_b64 s[4:5], s[4:5], exec
                                        ; implicit-def: $vgpr9
	s_or_saveexec_b64 s[6:7], s[6:7]
	v_mov_b32_e32 v8, s10
	s_xor_b64 exec, exec, s[6:7]
	s_cbranch_execz .LBB2_202
.LBB2_460:
	v_cmp_ne_u16_e32 vcc, 0, v9
	s_andn2_b64 s[4:5], s[4:5], exec
	s_and_b64 s[8:9], vcc, exec
	v_mov_b32_e32 v8, 0
	s_or_b64 s[4:5], s[4:5], s[8:9]
	s_or_b64 exec, exec, s[6:7]
	s_and_saveexec_b64 s[6:7], s[4:5]
	s_cbranch_execnz .LBB2_203
	s_branch .LBB2_204
.LBB2_461:
	s_movk_i32 s4, 0x80
	v_cmp_eq_u16_e32 vcc, s4, v10
	s_mov_b64 s[4:5], -1
                                        ; implicit-def: $sgpr10
	s_and_saveexec_b64 s[8:9], vcc
; %bb.462:
	s_mov_b32 s10, 0x7f800001
	s_xor_b64 s[4:5], exec, -1
; %bb.463:
	s_or_b64 exec, exec, s[8:9]
	s_and_b64 s[4:5], s[4:5], exec
                                        ; implicit-def: $vgpr10
	s_or_saveexec_b64 s[6:7], s[6:7]
	v_mov_b32_e32 v9, s10
	s_xor_b64 exec, exec, s[6:7]
	s_cbranch_execz .LBB2_206
.LBB2_464:
	v_cmp_ne_u16_e32 vcc, 0, v10
	s_andn2_b64 s[4:5], s[4:5], exec
	s_and_b64 s[8:9], vcc, exec
	v_mov_b32_e32 v9, 0
	s_or_b64 s[4:5], s[4:5], s[8:9]
	s_or_b64 exec, exec, s[6:7]
	s_and_saveexec_b64 s[6:7], s[4:5]
	s_cbranch_execnz .LBB2_207
	s_branch .LBB2_208
.LBB2_465:
	s_movk_i32 s4, 0x80
	v_cmp_eq_u16_sdwa s[12:13], v1, s4 src0_sel:BYTE_0 src1_sel:DWORD
	s_mov_b64 s[4:5], -1
                                        ; implicit-def: $sgpr10
	s_and_saveexec_b64 s[8:9], s[12:13]
; %bb.466:
	s_mov_b32 s10, 0x7f800001
	s_xor_b64 s[4:5], exec, -1
; %bb.467:
	s_or_b64 exec, exec, s[8:9]
	s_and_b64 s[4:5], s[4:5], exec
	s_or_saveexec_b64 s[6:7], s[6:7]
	v_mov_b32_e32 v0, s10
	s_xor_b64 exec, exec, s[6:7]
	s_cbranch_execz .LBB2_210
.LBB2_468:
	v_mov_b32_e32 v0, 0
	v_cmp_ne_u16_sdwa s[8:9], v1, v0 src0_sel:BYTE_0 src1_sel:DWORD
	s_andn2_b64 s[4:5], s[4:5], exec
	s_and_b64 s[8:9], s[8:9], exec
	s_or_b64 s[4:5], s[4:5], s[8:9]
	s_or_b64 exec, exec, s[6:7]
	s_and_saveexec_b64 s[6:7], s[4:5]
	s_cbranch_execnz .LBB2_211
	s_branch .LBB2_212
.LBB2_469:
	s_movk_i32 s4, 0x80
	v_cmp_eq_u16_sdwa s[12:13], v1, s4 src0_sel:BYTE_1 src1_sel:DWORD
	s_mov_b64 s[4:5], -1
                                        ; implicit-def: $sgpr10
	s_and_saveexec_b64 s[8:9], s[12:13]
; %bb.470:
	s_mov_b32 s10, 0x7f800001
	s_xor_b64 s[4:5], exec, -1
; %bb.471:
	s_or_b64 exec, exec, s[8:9]
	s_and_b64 s[4:5], s[4:5], exec
	s_or_saveexec_b64 s[6:7], s[6:7]
	v_mov_b32_e32 v10, s10
	s_xor_b64 exec, exec, s[6:7]
	s_cbranch_execz .LBB2_214
.LBB2_472:
	v_mov_b32_e32 v10, 0
	v_cmp_ne_u16_sdwa s[8:9], v1, v10 src0_sel:BYTE_1 src1_sel:DWORD
	s_andn2_b64 s[4:5], s[4:5], exec
	s_and_b64 s[8:9], s[8:9], exec
	s_or_b64 s[4:5], s[4:5], s[8:9]
	s_or_b64 exec, exec, s[6:7]
	s_and_saveexec_b64 s[6:7], s[4:5]
	s_cbranch_execnz .LBB2_215
	s_branch .LBB2_216
.LBB2_473:
	s_movk_i32 s4, 0x80
	v_cmp_eq_u16_e32 vcc, s4, v12
	s_mov_b64 s[4:5], -1
                                        ; implicit-def: $sgpr10
	s_and_saveexec_b64 s[8:9], vcc
; %bb.474:
	s_mov_b32 s10, 0x7f800001
	s_xor_b64 s[4:5], exec, -1
; %bb.475:
	s_or_b64 exec, exec, s[8:9]
	s_and_b64 s[4:5], s[4:5], exec
                                        ; implicit-def: $vgpr12
	s_or_saveexec_b64 s[6:7], s[6:7]
	v_mov_b32_e32 v11, s10
	s_xor_b64 exec, exec, s[6:7]
	s_cbranch_execz .LBB2_218
.LBB2_476:
	v_cmp_ne_u16_e32 vcc, 0, v12
	s_andn2_b64 s[4:5], s[4:5], exec
	s_and_b64 s[8:9], vcc, exec
	v_mov_b32_e32 v11, 0
	s_or_b64 s[4:5], s[4:5], s[8:9]
	s_or_b64 exec, exec, s[6:7]
	s_and_saveexec_b64 s[6:7], s[4:5]
	s_cbranch_execnz .LBB2_219
	s_branch .LBB2_220
.LBB2_477:
	s_movk_i32 s4, 0x80
	v_cmp_eq_u16_e32 vcc, s4, v13
	s_mov_b64 s[4:5], -1
                                        ; implicit-def: $sgpr10
	s_and_saveexec_b64 s[8:9], vcc
; %bb.478:
	s_mov_b32 s10, 0x7f800001
	s_xor_b64 s[4:5], exec, -1
; %bb.479:
	s_or_b64 exec, exec, s[8:9]
	s_and_b64 s[4:5], s[4:5], exec
                                        ; implicit-def: $vgpr13
	s_or_saveexec_b64 s[6:7], s[6:7]
	v_mov_b32_e32 v12, s10
	s_xor_b64 exec, exec, s[6:7]
	s_cbranch_execz .LBB2_222
.LBB2_480:
	v_cmp_ne_u16_e32 vcc, 0, v13
	s_andn2_b64 s[4:5], s[4:5], exec
	s_and_b64 s[8:9], vcc, exec
	v_mov_b32_e32 v12, 0
	s_or_b64 s[4:5], s[4:5], s[8:9]
	s_or_b64 exec, exec, s[6:7]
	s_and_saveexec_b64 s[6:7], s[4:5]
	s_cbranch_execnz .LBB2_223
	s_branch .LBB2_224
.LBB2_481:
	s_movk_i32 s4, 0x80
	v_cmp_eq_u16_sdwa s[12:13], v2, s4 src0_sel:BYTE_0 src1_sel:DWORD
	s_mov_b64 s[4:5], -1
                                        ; implicit-def: $sgpr10
	s_and_saveexec_b64 s[8:9], s[12:13]
; %bb.482:
	s_mov_b32 s10, 0x7f800001
	s_xor_b64 s[4:5], exec, -1
; %bb.483:
	s_or_b64 exec, exec, s[8:9]
	s_and_b64 s[4:5], s[4:5], exec
	s_or_saveexec_b64 s[6:7], s[6:7]
	v_mov_b32_e32 v1, s10
	s_xor_b64 exec, exec, s[6:7]
	s_cbranch_execz .LBB2_226
.LBB2_484:
	v_mov_b32_e32 v1, 0
	v_cmp_ne_u16_sdwa s[8:9], v2, v1 src0_sel:BYTE_0 src1_sel:DWORD
	s_andn2_b64 s[4:5], s[4:5], exec
	s_and_b64 s[8:9], s[8:9], exec
	s_or_b64 s[4:5], s[4:5], s[8:9]
	s_or_b64 exec, exec, s[6:7]
	s_and_saveexec_b64 s[6:7], s[4:5]
	s_cbranch_execnz .LBB2_227
	s_branch .LBB2_228
.LBB2_485:
	s_movk_i32 s4, 0x80
	v_cmp_eq_u16_sdwa s[12:13], v2, s4 src0_sel:BYTE_1 src1_sel:DWORD
	s_mov_b64 s[4:5], -1
                                        ; implicit-def: $sgpr10
	s_and_saveexec_b64 s[8:9], s[12:13]
; %bb.486:
	s_mov_b32 s10, 0x7f800001
	s_xor_b64 s[4:5], exec, -1
; %bb.487:
	s_or_b64 exec, exec, s[8:9]
	s_and_b64 s[4:5], s[4:5], exec
	s_or_saveexec_b64 s[6:7], s[6:7]
	v_mov_b32_e32 v13, s10
	s_xor_b64 exec, exec, s[6:7]
	s_cbranch_execz .LBB2_230
.LBB2_488:
	v_mov_b32_e32 v13, 0
	v_cmp_ne_u16_sdwa s[8:9], v2, v13 src0_sel:BYTE_1 src1_sel:DWORD
	s_andn2_b64 s[4:5], s[4:5], exec
	s_and_b64 s[8:9], s[8:9], exec
	s_or_b64 s[4:5], s[4:5], s[8:9]
	s_or_b64 exec, exec, s[6:7]
	s_and_saveexec_b64 s[6:7], s[4:5]
	s_cbranch_execnz .LBB2_231
	s_branch .LBB2_232
.LBB2_489:
	s_movk_i32 s4, 0x80
	v_cmp_eq_u16_e32 vcc, s4, v15
	s_mov_b64 s[4:5], -1
                                        ; implicit-def: $sgpr10
	s_and_saveexec_b64 s[8:9], vcc
; %bb.490:
	s_mov_b32 s10, 0x7f800001
	s_xor_b64 s[4:5], exec, -1
; %bb.491:
	s_or_b64 exec, exec, s[8:9]
	s_and_b64 s[4:5], s[4:5], exec
                                        ; implicit-def: $vgpr15
	s_or_saveexec_b64 s[6:7], s[6:7]
	v_mov_b32_e32 v14, s10
	s_xor_b64 exec, exec, s[6:7]
	s_cbranch_execz .LBB2_234
.LBB2_492:
	v_cmp_ne_u16_e32 vcc, 0, v15
	s_andn2_b64 s[4:5], s[4:5], exec
	s_and_b64 s[8:9], vcc, exec
	v_mov_b32_e32 v14, 0
	s_or_b64 s[4:5], s[4:5], s[8:9]
	s_or_b64 exec, exec, s[6:7]
	s_and_saveexec_b64 s[6:7], s[4:5]
	s_cbranch_execnz .LBB2_235
	s_branch .LBB2_236
.LBB2_493:
	s_movk_i32 s4, 0x80
	v_cmp_eq_u16_e32 vcc, s4, v16
	s_mov_b64 s[4:5], -1
                                        ; implicit-def: $sgpr10
	s_and_saveexec_b64 s[8:9], vcc
; %bb.494:
	s_mov_b32 s10, 0x7f800001
	s_xor_b64 s[4:5], exec, -1
; %bb.495:
	s_or_b64 exec, exec, s[8:9]
	s_and_b64 s[4:5], s[4:5], exec
                                        ; implicit-def: $vgpr16
	s_or_saveexec_b64 s[6:7], s[6:7]
	v_mov_b32_e32 v15, s10
	s_xor_b64 exec, exec, s[6:7]
	s_cbranch_execz .LBB2_238
.LBB2_496:
	v_cmp_ne_u16_e32 vcc, 0, v16
	s_andn2_b64 s[4:5], s[4:5], exec
	s_and_b64 s[8:9], vcc, exec
	v_mov_b32_e32 v15, 0
	s_or_b64 s[4:5], s[4:5], s[8:9]
	s_or_b64 exec, exec, s[6:7]
	s_and_saveexec_b64 s[6:7], s[4:5]
	s_cbranch_execnz .LBB2_239
	s_branch .LBB2_240
.LBB2_497:
	s_movk_i32 s4, 0x80
	v_cmp_eq_u16_sdwa s[12:13], v3, s4 src0_sel:BYTE_0 src1_sel:DWORD
	s_mov_b64 s[4:5], -1
                                        ; implicit-def: $sgpr10
	s_and_saveexec_b64 s[8:9], s[12:13]
; %bb.498:
	s_mov_b32 s10, 0x7f800001
	s_xor_b64 s[4:5], exec, -1
; %bb.499:
	s_or_b64 exec, exec, s[8:9]
	s_and_b64 s[4:5], s[4:5], exec
	s_or_saveexec_b64 s[6:7], s[6:7]
	v_mov_b32_e32 v2, s10
	s_xor_b64 exec, exec, s[6:7]
	s_cbranch_execz .LBB2_242
.LBB2_500:
	v_mov_b32_e32 v2, 0
	v_cmp_ne_u16_sdwa s[8:9], v3, v2 src0_sel:BYTE_0 src1_sel:DWORD
	s_andn2_b64 s[4:5], s[4:5], exec
	s_and_b64 s[8:9], s[8:9], exec
	s_or_b64 s[4:5], s[4:5], s[8:9]
	s_or_b64 exec, exec, s[6:7]
	s_and_saveexec_b64 s[6:7], s[4:5]
	s_cbranch_execnz .LBB2_243
	s_branch .LBB2_244
.LBB2_501:
	s_movk_i32 s4, 0x80
	v_cmp_eq_u16_sdwa s[12:13], v3, s4 src0_sel:BYTE_1 src1_sel:DWORD
	s_mov_b64 s[4:5], -1
                                        ; implicit-def: $sgpr10
	s_and_saveexec_b64 s[8:9], s[12:13]
; %bb.502:
	s_mov_b32 s10, 0x7f800001
	s_xor_b64 s[4:5], exec, -1
; %bb.503:
	s_or_b64 exec, exec, s[8:9]
	s_and_b64 s[4:5], s[4:5], exec
	s_or_saveexec_b64 s[6:7], s[6:7]
	v_mov_b32_e32 v16, s10
	s_xor_b64 exec, exec, s[6:7]
	s_cbranch_execz .LBB2_246
.LBB2_504:
	v_mov_b32_e32 v16, 0
	v_cmp_ne_u16_sdwa s[8:9], v3, v16 src0_sel:BYTE_1 src1_sel:DWORD
	s_andn2_b64 s[4:5], s[4:5], exec
	s_and_b64 s[8:9], s[8:9], exec
	s_or_b64 s[4:5], s[4:5], s[8:9]
	s_or_b64 exec, exec, s[6:7]
	s_and_saveexec_b64 s[6:7], s[4:5]
	s_cbranch_execnz .LBB2_247
	s_branch .LBB2_248
.LBB2_505:
	s_movk_i32 s4, 0x80
	v_cmp_eq_u16_e32 vcc, s4, v18
	s_mov_b64 s[4:5], -1
                                        ; implicit-def: $sgpr10
	s_and_saveexec_b64 s[8:9], vcc
; %bb.506:
	s_mov_b32 s10, 0x7f800001
	s_xor_b64 s[4:5], exec, -1
; %bb.507:
	s_or_b64 exec, exec, s[8:9]
	s_and_b64 s[4:5], s[4:5], exec
                                        ; implicit-def: $vgpr18
	s_or_saveexec_b64 s[6:7], s[6:7]
	v_mov_b32_e32 v17, s10
	s_xor_b64 exec, exec, s[6:7]
	s_cbranch_execz .LBB2_250
.LBB2_508:
	v_cmp_ne_u16_e32 vcc, 0, v18
	s_andn2_b64 s[4:5], s[4:5], exec
	s_and_b64 s[8:9], vcc, exec
	v_mov_b32_e32 v17, 0
	s_or_b64 s[4:5], s[4:5], s[8:9]
	s_or_b64 exec, exec, s[6:7]
	s_and_saveexec_b64 s[6:7], s[4:5]
	s_cbranch_execnz .LBB2_251
	s_branch .LBB2_252
.LBB2_509:
	s_movk_i32 s4, 0x80
	v_cmp_eq_u16_e32 vcc, s4, v19
	s_mov_b64 s[4:5], -1
                                        ; implicit-def: $sgpr10
	s_and_saveexec_b64 s[8:9], vcc
; %bb.510:
	s_mov_b32 s10, 0x7f800001
	s_xor_b64 s[4:5], exec, -1
; %bb.511:
	s_or_b64 exec, exec, s[8:9]
	s_and_b64 s[4:5], s[4:5], exec
                                        ; implicit-def: $vgpr19
	s_or_saveexec_b64 s[6:7], s[6:7]
	v_mov_b32_e32 v18, s10
	s_xor_b64 exec, exec, s[6:7]
	s_cbranch_execz .LBB2_254
.LBB2_512:
	v_cmp_ne_u16_e32 vcc, 0, v19
	s_andn2_b64 s[4:5], s[4:5], exec
	s_and_b64 s[8:9], vcc, exec
	v_mov_b32_e32 v18, 0
	s_or_b64 s[4:5], s[4:5], s[8:9]
	s_or_b64 exec, exec, s[6:7]
	s_and_saveexec_b64 s[6:7], s[4:5]
	s_cbranch_execnz .LBB2_255
	s_branch .LBB2_256
.Lfunc_end2:
	.size	_ZNK2ck32ThreadwiseTensorSliceTransfer_v4INS_9f8_fnuz_tEDF16_KNS_16TensorDescriptorINS_5TupleIJNS_5EmbedINS3_IJNS_17integral_constantIiLi16EEENS5_IiLi32EEES6_EEENS3_IJS6_NS5_IiLi256EEENS5_IiLi1EEEEEELb0EEENS_3XorINS3_IJS7_S6_EEELb1EEENS_11PassThroughIS6_EENS_7UnMergeINS3_IJS6_SA_EEELb0EEENSG_IS7_EESH_SH_NS_21Merge_v3_division_modINS3_IJS7_SA_EEEEESH_NSM_INS3_IJS6_S6_EEEEENSI_INS3_IJNS5_IiLi2EEESA_S6_EEELb0EEEEEENS3_IJNS_8SequenceIJLi0EEEENSV_IJLi2ELi1EEEENSV_IJLi3EEEENSV_IJLi5EEEENSV_IJLi4EEEENSV_IJLi6EEEENSV_IJLi7EEEENSV_IJLi9ELi8EEEENSV_IJLi10EEEENSV_IJLi11ELi13EEEENSV_IJLi12EEEEEEENS3_IJNSV_IJLi1ELi2ELi3EEEENSV_IJLi4ELi5EEEES11_NSV_IJLi7ELi8EEEENSV_IJLi9EEEES14_NSV_IJLi11EEEES16_NSV_IJLi13EEEENSV_IJLi14EEEENSV_IJLi15ELi16ELi17EEEEEEENSV_IJLi15ELi16ELi17ELi14EEEENS5_IlLl8192EEEEEKNS2_INS3_IJNS4_INS3_IJSR_SA_SA_NS5_IiLi64EEEEEENS3_IJS1L_NS5_IiLi128EEES1N_SA_EEELb0EEEEEENS3_IJSW_EEENS3_IJNSV_IJLi1ELi2ELi3ELi4EEEEEEES1S_NS5_IlLl128EEEEENSV_IJLi1ELi1ELi1ELi64EEEENSV_IJLi0ELi1ELi2ELi3EEEELi3ELi16ELi16ELb0EE3RunINS3_IJNS5_IiLi0EEES21_S21_S21_EEES22_NS_13DynamicBufferILNS_16AddressSpaceEnumE2ES1_S1I_Lb1ELNS_22AmdBufferCoherenceEnumE0EiEENS_12StaticBufferILS24_4EDF16_Li128ELb1EEEEEvRS1K_RKT_RKT1_RS1W_RKT0_RT2_, .Lfunc_end2-_ZNK2ck32ThreadwiseTensorSliceTransfer_v4INS_9f8_fnuz_tEDF16_KNS_16TensorDescriptorINS_5TupleIJNS_5EmbedINS3_IJNS_17integral_constantIiLi16EEENS5_IiLi32EEES6_EEENS3_IJS6_NS5_IiLi256EEENS5_IiLi1EEEEEELb0EEENS_3XorINS3_IJS7_S6_EEELb1EEENS_11PassThroughIS6_EENS_7UnMergeINS3_IJS6_SA_EEELb0EEENSG_IS7_EESH_SH_NS_21Merge_v3_division_modINS3_IJS7_SA_EEEEESH_NSM_INS3_IJS6_S6_EEEEENSI_INS3_IJNS5_IiLi2EEESA_S6_EEELb0EEEEEENS3_IJNS_8SequenceIJLi0EEEENSV_IJLi2ELi1EEEENSV_IJLi3EEEENSV_IJLi5EEEENSV_IJLi4EEEENSV_IJLi6EEEENSV_IJLi7EEEENSV_IJLi9ELi8EEEENSV_IJLi10EEEENSV_IJLi11ELi13EEEENSV_IJLi12EEEEEEENS3_IJNSV_IJLi1ELi2ELi3EEEENSV_IJLi4ELi5EEEES11_NSV_IJLi7ELi8EEEENSV_IJLi9EEEES14_NSV_IJLi11EEEES16_NSV_IJLi13EEEENSV_IJLi14EEEENSV_IJLi15ELi16ELi17EEEEEEENSV_IJLi15ELi16ELi17ELi14EEEENS5_IlLl8192EEEEEKNS2_INS3_IJNS4_INS3_IJSR_SA_SA_NS5_IiLi64EEEEEENS3_IJS1L_NS5_IiLi128EEES1N_SA_EEELb0EEEEEENS3_IJSW_EEENS3_IJNSV_IJLi1ELi2ELi3ELi4EEEEEEES1S_NS5_IlLl128EEEEENSV_IJLi1ELi1ELi1ELi64EEEENSV_IJLi0ELi1ELi2ELi3EEEELi3ELi16ELi16ELb0EE3RunINS3_IJNS5_IiLi0EEES21_S21_S21_EEES22_NS_13DynamicBufferILNS_16AddressSpaceEnumE2ES1_S1I_Lb1ELNS_22AmdBufferCoherenceEnumE0EiEENS_12StaticBufferILS24_4EDF16_Li128ELb1EEEEEvRS1K_RKT_RKT1_RS1W_RKT0_RT2_
                                        ; -- End function
	.section	.AMDGPU.csdata,"",@progbits
; Function info:
; codeLenInByte = 17112
; NumSgprs: 36
; NumVgprs: 28
; NumAgprs: 0
; TotalNumVgprs: 28
; ScratchSize: 0
; MemoryBound: 0
	.text
	.p2align	2                               ; -- Begin function _ZNK2ck32ThreadwiseTensorSliceTransfer_v4INS_9f8_fnuz_tEDF16_KNS_16TensorDescriptorINS_5TupleIJNS_5EmbedINS3_IJNS_17integral_constantIiLi16EEENS5_IiLi32EEES6_EEENS3_IJS6_NS5_IiLi256EEENS5_IiLi1EEEEEELb0EEENS_3XorINS3_IJS7_S6_EEELb1EEENS_11PassThroughIS6_EENS_7UnMergeINS3_IJS6_SA_EEELb0EEENSG_IS7_EESH_SH_NS_21Merge_v3_division_modINS3_IJS7_SA_EEEEESH_NSM_INS3_IJS6_S6_EEEEENSI_INS3_IJNS5_IiLi2EEESA_S6_EEELb0EEEEEENS3_IJNS_8SequenceIJLi0EEEENSV_IJLi2ELi1EEEENSV_IJLi3EEEENSV_IJLi5EEEENSV_IJLi4EEEENSV_IJLi6EEEENSV_IJLi7EEEENSV_IJLi9ELi8EEEENSV_IJLi10EEEENSV_IJLi11ELi13EEEENSV_IJLi12EEEEEEENS3_IJNSV_IJLi1ELi2ELi3EEEENSV_IJLi4ELi5EEEES11_NSV_IJLi7ELi8EEEENSV_IJLi9EEEES14_NSV_IJLi11EEEES16_NSV_IJLi13EEEENSV_IJLi14EEEENSV_IJLi15ELi16ELi17EEEEEEENSV_IJLi15ELi16ELi17ELi14EEEENS5_IlLl8192EEEEEKNS2_INS3_IJNS4_INS3_IJSR_SA_SA_NS5_IiLi64EEEEEENS3_IJS1L_NS5_IiLi128EEES1N_SA_EEELb0EEEEEENS3_IJSW_EEENS3_IJNSV_IJLi1ELi2ELi3ELi4EEEEEEES1S_NS5_IlLl128EEEEENSV_IJLi1ELi1ELi1ELi64EEEENSV_IJLi0ELi1ELi2ELi3EEEELi3ELi16ELi16ELb0EE3RunINS3_IJSA_NS5_IiLi0EEES21_S21_EEES22_NS_13DynamicBufferILNS_16AddressSpaceEnumE2ES1_S1I_Lb1ELNS_22AmdBufferCoherenceEnumE0EiEENS_12StaticBufferILS24_4EDF16_Li128ELb1EEEEEvRS1K_RKT_RKT1_RS1W_RKT0_RT2_
	.type	_ZNK2ck32ThreadwiseTensorSliceTransfer_v4INS_9f8_fnuz_tEDF16_KNS_16TensorDescriptorINS_5TupleIJNS_5EmbedINS3_IJNS_17integral_constantIiLi16EEENS5_IiLi32EEES6_EEENS3_IJS6_NS5_IiLi256EEENS5_IiLi1EEEEEELb0EEENS_3XorINS3_IJS7_S6_EEELb1EEENS_11PassThroughIS6_EENS_7UnMergeINS3_IJS6_SA_EEELb0EEENSG_IS7_EESH_SH_NS_21Merge_v3_division_modINS3_IJS7_SA_EEEEESH_NSM_INS3_IJS6_S6_EEEEENSI_INS3_IJNS5_IiLi2EEESA_S6_EEELb0EEEEEENS3_IJNS_8SequenceIJLi0EEEENSV_IJLi2ELi1EEEENSV_IJLi3EEEENSV_IJLi5EEEENSV_IJLi4EEEENSV_IJLi6EEEENSV_IJLi7EEEENSV_IJLi9ELi8EEEENSV_IJLi10EEEENSV_IJLi11ELi13EEEENSV_IJLi12EEEEEEENS3_IJNSV_IJLi1ELi2ELi3EEEENSV_IJLi4ELi5EEEES11_NSV_IJLi7ELi8EEEENSV_IJLi9EEEES14_NSV_IJLi11EEEES16_NSV_IJLi13EEEENSV_IJLi14EEEENSV_IJLi15ELi16ELi17EEEEEEENSV_IJLi15ELi16ELi17ELi14EEEENS5_IlLl8192EEEEEKNS2_INS3_IJNS4_INS3_IJSR_SA_SA_NS5_IiLi64EEEEEENS3_IJS1L_NS5_IiLi128EEES1N_SA_EEELb0EEEEEENS3_IJSW_EEENS3_IJNSV_IJLi1ELi2ELi3ELi4EEEEEEES1S_NS5_IlLl128EEEEENSV_IJLi1ELi1ELi1ELi64EEEENSV_IJLi0ELi1ELi2ELi3EEEELi3ELi16ELi16ELb0EE3RunINS3_IJSA_NS5_IiLi0EEES21_S21_EEES22_NS_13DynamicBufferILNS_16AddressSpaceEnumE2ES1_S1I_Lb1ELNS_22AmdBufferCoherenceEnumE0EiEENS_12StaticBufferILS24_4EDF16_Li128ELb1EEEEEvRS1K_RKT_RKT1_RS1W_RKT0_RT2_,@function
_ZNK2ck32ThreadwiseTensorSliceTransfer_v4INS_9f8_fnuz_tEDF16_KNS_16TensorDescriptorINS_5TupleIJNS_5EmbedINS3_IJNS_17integral_constantIiLi16EEENS5_IiLi32EEES6_EEENS3_IJS6_NS5_IiLi256EEENS5_IiLi1EEEEEELb0EEENS_3XorINS3_IJS7_S6_EEELb1EEENS_11PassThroughIS6_EENS_7UnMergeINS3_IJS6_SA_EEELb0EEENSG_IS7_EESH_SH_NS_21Merge_v3_division_modINS3_IJS7_SA_EEEEESH_NSM_INS3_IJS6_S6_EEEEENSI_INS3_IJNS5_IiLi2EEESA_S6_EEELb0EEEEEENS3_IJNS_8SequenceIJLi0EEEENSV_IJLi2ELi1EEEENSV_IJLi3EEEENSV_IJLi5EEEENSV_IJLi4EEEENSV_IJLi6EEEENSV_IJLi7EEEENSV_IJLi9ELi8EEEENSV_IJLi10EEEENSV_IJLi11ELi13EEEENSV_IJLi12EEEEEEENS3_IJNSV_IJLi1ELi2ELi3EEEENSV_IJLi4ELi5EEEES11_NSV_IJLi7ELi8EEEENSV_IJLi9EEEES14_NSV_IJLi11EEEES16_NSV_IJLi13EEEENSV_IJLi14EEEENSV_IJLi15ELi16ELi17EEEEEEENSV_IJLi15ELi16ELi17ELi14EEEENS5_IlLl8192EEEEEKNS2_INS3_IJNS4_INS3_IJSR_SA_SA_NS5_IiLi64EEEEEENS3_IJS1L_NS5_IiLi128EEES1N_SA_EEELb0EEEEEENS3_IJSW_EEENS3_IJNSV_IJLi1ELi2ELi3ELi4EEEEEEES1S_NS5_IlLl128EEEEENSV_IJLi1ELi1ELi1ELi64EEEENSV_IJLi0ELi1ELi2ELi3EEEELi3ELi16ELi16ELb0EE3RunINS3_IJSA_NS5_IiLi0EEES21_S21_EEES22_NS_13DynamicBufferILNS_16AddressSpaceEnumE2ES1_S1I_Lb1ELNS_22AmdBufferCoherenceEnumE0EiEENS_12StaticBufferILS24_4EDF16_Li128ELb1EEEEEvRS1K_RKT_RKT1_RS1W_RKT0_RT2_: ; @_ZNK2ck32ThreadwiseTensorSliceTransfer_v4INS_9f8_fnuz_tEDF16_KNS_16TensorDescriptorINS_5TupleIJNS_5EmbedINS3_IJNS_17integral_constantIiLi16EEENS5_IiLi32EEES6_EEENS3_IJS6_NS5_IiLi256EEENS5_IiLi1EEEEEELb0EEENS_3XorINS3_IJS7_S6_EEELb1EEENS_11PassThroughIS6_EENS_7UnMergeINS3_IJS6_SA_EEELb0EEENSG_IS7_EESH_SH_NS_21Merge_v3_division_modINS3_IJS7_SA_EEEEESH_NSM_INS3_IJS6_S6_EEEEENSI_INS3_IJNS5_IiLi2EEESA_S6_EEELb0EEEEEENS3_IJNS_8SequenceIJLi0EEEENSV_IJLi2ELi1EEEENSV_IJLi3EEEENSV_IJLi5EEEENSV_IJLi4EEEENSV_IJLi6EEEENSV_IJLi7EEEENSV_IJLi9ELi8EEEENSV_IJLi10EEEENSV_IJLi11ELi13EEEENSV_IJLi12EEEEEEENS3_IJNSV_IJLi1ELi2ELi3EEEENSV_IJLi4ELi5EEEES11_NSV_IJLi7ELi8EEEENSV_IJLi9EEEES14_NSV_IJLi11EEEES16_NSV_IJLi13EEEENSV_IJLi14EEEENSV_IJLi15ELi16ELi17EEEEEEENSV_IJLi15ELi16ELi17ELi14EEEENS5_IlLl8192EEEEEKNS2_INS3_IJNS4_INS3_IJSR_SA_SA_NS5_IiLi64EEEEEENS3_IJS1L_NS5_IiLi128EEES1N_SA_EEELb0EEEEEENS3_IJSW_EEENS3_IJNSV_IJLi1ELi2ELi3ELi4EEEEEEES1S_NS5_IlLl128EEEEENSV_IJLi1ELi1ELi1ELi64EEEENSV_IJLi0ELi1ELi2ELi3EEEELi3ELi16ELi16ELb0EE3RunINS3_IJSA_NS5_IiLi0EEES21_S21_EEES22_NS_13DynamicBufferILNS_16AddressSpaceEnumE2ES1_S1I_Lb1ELNS_22AmdBufferCoherenceEnumE0EiEENS_12StaticBufferILS24_4EDF16_Li128ELb1EEEEEvRS1K_RKT_RKT1_RS1W_RKT0_RT2_
; %bb.0:
	s_waitcnt vmcnt(0) expcnt(0) lgkmcnt(0)
	flat_load_dwordx2 v[12:13], v[0:1] offset:16
	flat_load_dwordx2 v[14:15], v[0:1] offset:32
	flat_load_dword v9, v[0:1] offset:48
	flat_load_dwordx3 v[6:8], v[0:1]
	flat_load_dwordx2 v[10:11], v[2:3]
	s_movk_i32 s4, 0x7f
                                        ; implicit-def: $sgpr10
	s_waitcnt vmcnt(0) lgkmcnt(0)
	v_sub_u32_e32 v2, v12, v15
	v_add3_u32 v2, v2, v9, 16
	v_ashrrev_i32_e32 v9, 31, v2
	v_lshrrev_b32_e32 v9, 28, v9
	v_add_u32_e32 v9, v2, v9
	v_and_b32_e32 v9, 0xffffff0, v9
	v_sub_u32_e32 v3, v13, v14
	v_sub_u32_e32 v8, v2, v8
	;; [unrolled: 1-line block ×3, first 2 shown]
	v_xor_b32_e32 v2, v2, v3
	v_sub_u32_e32 v2, v2, v7
	v_lshlrev_b32_e32 v8, 8, v8
	v_lshlrev_b32_e32 v2, 4, v2
	v_add3_u32 v2, v8, v6, v2
	v_ashrrev_i32_e32 v3, 31, v2
	v_add_co_u32_e32 v2, vcc, v10, v2
	v_addc_co_u32_e32 v3, vcc, v11, v3, vcc
	flat_load_dwordx4 v[6:9], v[2:3]
	s_waitcnt vmcnt(0) lgkmcnt(0)
	v_cmp_gt_i16_sdwa s[6:7], v6, s4 src0_sel:BYTE_0 src1_sel:DWORD
	s_mov_b64 s[4:5], 0
	s_and_saveexec_b64 s[8:9], s[6:7]
	s_xor_b64 s[6:7], exec, s[8:9]
	s_cbranch_execnz .LBB3_257
; %bb.1:
	s_or_saveexec_b64 s[6:7], s[6:7]
	v_mov_b32_e32 v2, s10
	s_xor_b64 exec, exec, s[6:7]
	s_cbranch_execnz .LBB3_260
.LBB3_2:
	s_or_b64 exec, exec, s[6:7]
	s_and_saveexec_b64 s[6:7], s[4:5]
	s_cbranch_execz .LBB3_4
.LBB3_3:
	v_and_b32_e32 v2, 7, v6
	v_ffbh_u32_e32 v13, v2
	v_min_u32_e32 v13, 32, v13
	v_lshrrev_b16_e32 v12, 3, v6
	v_subrev_u32_e32 v14, 28, v13
	v_and_b32_e32 v12, 15, v12
	v_lshlrev_b32_e32 v14, v14, v2
	v_sub_u32_e32 v13, 29, v13
	v_and_b32_e32 v14, 7, v14
	v_cmp_eq_u16_e32 vcc, 0, v12
	v_lshrrev_b16_e32 v3, 7, v6
	v_cndmask_b32_e32 v2, v2, v14, vcc
	v_cndmask_b32_e32 v12, v12, v13, vcc
	v_mov_b32_e32 v13, 0x3b800000
	v_lshlrev_b32_e32 v2, 20, v2
	v_lshlrev_b32_e32 v3, 31, v3
	v_lshl_add_u32 v12, v12, 23, v13
	v_or3_b32 v2, v3, v12, v2
.LBB3_4:
	s_or_b64 exec, exec, s[6:7]
	s_movk_i32 s4, 0x7f
	v_cmp_gt_i16_sdwa s[6:7], v6, s4 src0_sel:BYTE_1 src1_sel:DWORD
	s_mov_b64 s[4:5], 0
                                        ; implicit-def: $sgpr10
	s_and_saveexec_b64 s[8:9], s[6:7]
	s_xor_b64 s[6:7], exec, s[8:9]
	s_cbranch_execnz .LBB3_261
; %bb.5:
	s_or_saveexec_b64 s[6:7], s[6:7]
	v_mov_b32_e32 v3, s10
	s_xor_b64 exec, exec, s[6:7]
	s_cbranch_execnz .LBB3_264
.LBB3_6:
	s_or_b64 exec, exec, s[6:7]
	s_and_saveexec_b64 s[6:7], s[4:5]
	s_cbranch_execz .LBB3_8
.LBB3_7:
	v_mov_b32_e32 v3, 7
	v_and_b32_sdwa v3, v6, v3 dst_sel:DWORD dst_unused:UNUSED_PAD src0_sel:BYTE_1 src1_sel:DWORD
	v_ffbh_u32_e32 v14, v3
	v_min_u32_e32 v14, 32, v14
	v_lshrrev_b16_e32 v13, 11, v6
	v_subrev_u32_e32 v15, 28, v14
	v_and_b32_e32 v13, 15, v13
	v_lshlrev_b32_e32 v15, v15, v3
	v_sub_u32_e32 v14, 29, v14
	v_and_b32_e32 v15, 7, v15
	v_cmp_eq_u16_e32 vcc, 0, v13
	v_lshrrev_b16_e32 v12, 15, v6
	v_cndmask_b32_e32 v3, v3, v15, vcc
	v_cndmask_b32_e32 v13, v13, v14, vcc
	v_mov_b32_e32 v14, 0x3b800000
	v_lshlrev_b32_e32 v3, 20, v3
	v_lshlrev_b32_e32 v12, 31, v12
	v_lshl_add_u32 v13, v13, 23, v14
	v_or3_b32 v3, v12, v13, v3
.LBB3_8:
	s_or_b64 exec, exec, s[6:7]
	s_movk_i32 s4, 0xff
	v_and_b32_sdwa v13, v6, s4 dst_sel:DWORD dst_unused:UNUSED_PAD src0_sel:WORD_1 src1_sel:DWORD
	s_movk_i32 s4, 0x7f
	v_cmp_lt_i16_e32 vcc, s4, v13
	s_mov_b64 s[4:5], 0
                                        ; implicit-def: $sgpr10
	s_and_saveexec_b64 s[6:7], vcc
	s_xor_b64 s[6:7], exec, s[6:7]
	s_cbranch_execnz .LBB3_265
; %bb.9:
	s_or_saveexec_b64 s[6:7], s[6:7]
	v_mov_b32_e32 v12, s10
	s_xor_b64 exec, exec, s[6:7]
	s_cbranch_execnz .LBB3_268
.LBB3_10:
	s_or_b64 exec, exec, s[6:7]
	s_and_saveexec_b64 s[6:7], s[4:5]
	s_cbranch_execz .LBB3_12
.LBB3_11:
	v_mov_b32_e32 v12, 7
	v_and_b32_sdwa v13, v6, v12 dst_sel:DWORD dst_unused:UNUSED_PAD src0_sel:WORD_1 src1_sel:DWORD
	v_ffbh_u32_e32 v15, v13
	v_mov_b32_e32 v14, 3
	v_min_u32_e32 v15, 32, v15
	v_lshrrev_b16_sdwa v14, v14, v6 dst_sel:DWORD dst_unused:UNUSED_PAD src0_sel:DWORD src1_sel:WORD_1
	v_subrev_u32_e32 v16, 28, v15
	v_and_b32_e32 v14, 15, v14
	v_lshlrev_b32_e32 v16, v16, v13
	v_sub_u32_e32 v15, 29, v15
	v_and_b32_e32 v16, 7, v16
	v_cmp_eq_u16_e32 vcc, 0, v14
	v_lshrrev_b16_sdwa v12, v12, v6 dst_sel:DWORD dst_unused:UNUSED_PAD src0_sel:DWORD src1_sel:WORD_1
	v_cndmask_b32_e32 v13, v13, v16, vcc
	v_cndmask_b32_e32 v14, v14, v15, vcc
	v_mov_b32_e32 v15, 0x3b800000
	v_lshlrev_b32_e32 v13, 20, v13
	v_lshlrev_b32_e32 v12, 31, v12
	v_lshl_add_u32 v14, v14, 23, v15
	v_or3_b32 v12, v12, v14, v13
.LBB3_12:
	s_or_b64 exec, exec, s[6:7]
	v_mov_b32_e32 v13, 8
	v_lshrrev_b16_sdwa v14, v13, v6 dst_sel:DWORD dst_unused:UNUSED_PAD src0_sel:DWORD src1_sel:WORD_1
	s_movk_i32 s4, 0x7f
	v_cmp_lt_i16_e32 vcc, s4, v14
	s_mov_b64 s[4:5], 0
                                        ; implicit-def: $sgpr10
	s_and_saveexec_b64 s[6:7], vcc
	s_xor_b64 s[6:7], exec, s[6:7]
	s_cbranch_execnz .LBB3_269
; %bb.13:
	s_or_saveexec_b64 s[6:7], s[6:7]
	v_mov_b32_e32 v13, s10
	s_xor_b64 exec, exec, s[6:7]
	s_cbranch_execnz .LBB3_272
.LBB3_14:
	s_or_b64 exec, exec, s[6:7]
	s_and_saveexec_b64 s[6:7], s[4:5]
	s_cbranch_execz .LBB3_16
.LBB3_15:
	v_mov_b32_e32 v13, 8
	v_lshrrev_b16_sdwa v13, v13, v6 dst_sel:DWORD dst_unused:UNUSED_PAD src0_sel:DWORD src1_sel:WORD_1
	v_and_b32_e32 v13, 7, v13
	v_mov_b32_e32 v14, 15
	v_mov_b32_e32 v15, 11
	v_lshrrev_b16_sdwa v14, v14, v6 dst_sel:DWORD dst_unused:UNUSED_PAD src0_sel:DWORD src1_sel:WORD_1
	v_lshrrev_b16_sdwa v6, v15, v6 dst_sel:DWORD dst_unused:UNUSED_PAD src0_sel:DWORD src1_sel:WORD_1
	v_ffbh_u32_e32 v15, v13
	v_min_u32_e32 v15, 32, v15
	v_subrev_u32_e32 v16, 28, v15
	v_and_b32_e32 v6, 15, v6
	v_lshlrev_b32_e32 v16, v16, v13
	v_sub_u32_e32 v15, 29, v15
	v_and_b32_e32 v16, 7, v16
	v_cmp_eq_u16_e32 vcc, 0, v6
	v_cndmask_b32_e32 v13, v13, v16, vcc
	v_cndmask_b32_e32 v6, v6, v15, vcc
	v_mov_b32_e32 v15, 0x3b800000
	v_lshlrev_b32_e32 v13, 20, v13
	v_lshlrev_b32_e32 v14, 31, v14
	v_lshl_add_u32 v6, v6, 23, v15
	v_or3_b32 v13, v14, v6, v13
.LBB3_16:
	s_or_b64 exec, exec, s[6:7]
	s_movk_i32 s4, 0x7f
	v_cmp_gt_i16_sdwa s[6:7], v7, s4 src0_sel:BYTE_0 src1_sel:DWORD
	s_mov_b64 s[4:5], 0
                                        ; implicit-def: $sgpr10
	s_and_saveexec_b64 s[8:9], s[6:7]
	s_xor_b64 s[6:7], exec, s[8:9]
	s_cbranch_execnz .LBB3_273
; %bb.17:
	s_or_saveexec_b64 s[6:7], s[6:7]
	v_mov_b32_e32 v6, s10
	s_xor_b64 exec, exec, s[6:7]
	s_cbranch_execnz .LBB3_276
.LBB3_18:
	s_or_b64 exec, exec, s[6:7]
	s_and_saveexec_b64 s[6:7], s[4:5]
	s_cbranch_execz .LBB3_20
.LBB3_19:
	v_and_b32_e32 v6, 7, v7
	v_ffbh_u32_e32 v16, v6
	v_min_u32_e32 v16, 32, v16
	v_lshrrev_b16_e32 v15, 3, v7
	v_subrev_u32_e32 v17, 28, v16
	v_and_b32_e32 v15, 15, v15
	v_lshlrev_b32_e32 v17, v17, v6
	v_sub_u32_e32 v16, 29, v16
	v_and_b32_e32 v17, 7, v17
	v_cmp_eq_u16_e32 vcc, 0, v15
	v_lshrrev_b16_e32 v14, 7, v7
	v_cndmask_b32_e32 v6, v6, v17, vcc
	v_cndmask_b32_e32 v15, v15, v16, vcc
	v_mov_b32_e32 v16, 0x3b800000
	v_lshlrev_b32_e32 v6, 20, v6
	v_lshlrev_b32_e32 v14, 31, v14
	v_lshl_add_u32 v15, v15, 23, v16
	v_or3_b32 v6, v14, v15, v6
.LBB3_20:
	s_or_b64 exec, exec, s[6:7]
	s_movk_i32 s4, 0x7f
	v_cmp_gt_i16_sdwa s[6:7], v7, s4 src0_sel:BYTE_1 src1_sel:DWORD
	s_mov_b64 s[4:5], 0
                                        ; implicit-def: $sgpr10
	s_and_saveexec_b64 s[8:9], s[6:7]
	s_xor_b64 s[6:7], exec, s[8:9]
	s_cbranch_execnz .LBB3_277
; %bb.21:
	s_or_saveexec_b64 s[6:7], s[6:7]
	v_mov_b32_e32 v14, s10
	s_xor_b64 exec, exec, s[6:7]
	s_cbranch_execnz .LBB3_280
.LBB3_22:
	s_or_b64 exec, exec, s[6:7]
	s_and_saveexec_b64 s[6:7], s[4:5]
	s_cbranch_execz .LBB3_24
.LBB3_23:
	v_mov_b32_e32 v14, 7
	v_and_b32_sdwa v14, v7, v14 dst_sel:DWORD dst_unused:UNUSED_PAD src0_sel:BYTE_1 src1_sel:DWORD
	v_ffbh_u32_e32 v17, v14
	v_min_u32_e32 v17, 32, v17
	v_lshrrev_b16_e32 v16, 11, v7
	v_subrev_u32_e32 v18, 28, v17
	v_and_b32_e32 v16, 15, v16
	v_lshlrev_b32_e32 v18, v18, v14
	v_sub_u32_e32 v17, 29, v17
	v_and_b32_e32 v18, 7, v18
	v_cmp_eq_u16_e32 vcc, 0, v16
	v_lshrrev_b16_e32 v15, 15, v7
	v_cndmask_b32_e32 v14, v14, v18, vcc
	v_cndmask_b32_e32 v16, v16, v17, vcc
	v_mov_b32_e32 v17, 0x3b800000
	v_lshlrev_b32_e32 v14, 20, v14
	v_lshlrev_b32_e32 v15, 31, v15
	v_lshl_add_u32 v16, v16, 23, v17
	v_or3_b32 v14, v15, v16, v14
.LBB3_24:
	s_or_b64 exec, exec, s[6:7]
	s_movk_i32 s4, 0xff
	v_and_b32_sdwa v16, v7, s4 dst_sel:DWORD dst_unused:UNUSED_PAD src0_sel:WORD_1 src1_sel:DWORD
	s_movk_i32 s4, 0x7f
	v_cmp_lt_i16_e32 vcc, s4, v16
	s_mov_b64 s[4:5], 0
                                        ; implicit-def: $sgpr10
	s_and_saveexec_b64 s[6:7], vcc
	s_xor_b64 s[6:7], exec, s[6:7]
	s_cbranch_execnz .LBB3_281
; %bb.25:
	s_or_saveexec_b64 s[6:7], s[6:7]
	v_mov_b32_e32 v15, s10
	s_xor_b64 exec, exec, s[6:7]
	s_cbranch_execnz .LBB3_284
.LBB3_26:
	s_or_b64 exec, exec, s[6:7]
	s_and_saveexec_b64 s[6:7], s[4:5]
	s_cbranch_execz .LBB3_28
.LBB3_27:
	v_mov_b32_e32 v15, 7
	v_and_b32_sdwa v16, v7, v15 dst_sel:DWORD dst_unused:UNUSED_PAD src0_sel:WORD_1 src1_sel:DWORD
	v_ffbh_u32_e32 v18, v16
	v_mov_b32_e32 v17, 3
	v_min_u32_e32 v18, 32, v18
	v_lshrrev_b16_sdwa v17, v17, v7 dst_sel:DWORD dst_unused:UNUSED_PAD src0_sel:DWORD src1_sel:WORD_1
	v_subrev_u32_e32 v19, 28, v18
	v_and_b32_e32 v17, 15, v17
	v_lshlrev_b32_e32 v19, v19, v16
	v_sub_u32_e32 v18, 29, v18
	v_and_b32_e32 v19, 7, v19
	v_cmp_eq_u16_e32 vcc, 0, v17
	v_lshrrev_b16_sdwa v15, v15, v7 dst_sel:DWORD dst_unused:UNUSED_PAD src0_sel:DWORD src1_sel:WORD_1
	v_cndmask_b32_e32 v16, v16, v19, vcc
	v_cndmask_b32_e32 v17, v17, v18, vcc
	v_mov_b32_e32 v18, 0x3b800000
	v_lshlrev_b32_e32 v16, 20, v16
	v_lshlrev_b32_e32 v15, 31, v15
	v_lshl_add_u32 v17, v17, 23, v18
	v_or3_b32 v15, v15, v17, v16
.LBB3_28:
	s_or_b64 exec, exec, s[6:7]
	v_mov_b32_e32 v16, 8
	v_lshrrev_b16_sdwa v17, v16, v7 dst_sel:DWORD dst_unused:UNUSED_PAD src0_sel:DWORD src1_sel:WORD_1
	s_movk_i32 s4, 0x7f
	v_cmp_lt_i16_e32 vcc, s4, v17
	s_mov_b64 s[4:5], 0
                                        ; implicit-def: $sgpr10
	s_and_saveexec_b64 s[6:7], vcc
	s_xor_b64 s[6:7], exec, s[6:7]
	s_cbranch_execnz .LBB3_285
; %bb.29:
	s_or_saveexec_b64 s[6:7], s[6:7]
	v_mov_b32_e32 v16, s10
	s_xor_b64 exec, exec, s[6:7]
	s_cbranch_execnz .LBB3_288
.LBB3_30:
	s_or_b64 exec, exec, s[6:7]
	s_and_saveexec_b64 s[6:7], s[4:5]
	s_cbranch_execz .LBB3_32
.LBB3_31:
	v_mov_b32_e32 v16, 8
	v_lshrrev_b16_sdwa v16, v16, v7 dst_sel:DWORD dst_unused:UNUSED_PAD src0_sel:DWORD src1_sel:WORD_1
	v_and_b32_e32 v16, 7, v16
	v_mov_b32_e32 v17, 15
	v_mov_b32_e32 v18, 11
	v_lshrrev_b16_sdwa v17, v17, v7 dst_sel:DWORD dst_unused:UNUSED_PAD src0_sel:DWORD src1_sel:WORD_1
	v_lshrrev_b16_sdwa v7, v18, v7 dst_sel:DWORD dst_unused:UNUSED_PAD src0_sel:DWORD src1_sel:WORD_1
	v_ffbh_u32_e32 v18, v16
	v_min_u32_e32 v18, 32, v18
	v_subrev_u32_e32 v19, 28, v18
	v_and_b32_e32 v7, 15, v7
	v_lshlrev_b32_e32 v19, v19, v16
	v_sub_u32_e32 v18, 29, v18
	v_and_b32_e32 v19, 7, v19
	v_cmp_eq_u16_e32 vcc, 0, v7
	v_cndmask_b32_e32 v16, v16, v19, vcc
	v_cndmask_b32_e32 v7, v7, v18, vcc
	v_mov_b32_e32 v18, 0x3b800000
	v_lshlrev_b32_e32 v16, 20, v16
	v_lshlrev_b32_e32 v17, 31, v17
	v_lshl_add_u32 v7, v7, 23, v18
	v_or3_b32 v16, v17, v7, v16
.LBB3_32:
	s_or_b64 exec, exec, s[6:7]
	s_movk_i32 s4, 0x7f
	v_cmp_gt_i16_sdwa s[6:7], v8, s4 src0_sel:BYTE_0 src1_sel:DWORD
	s_mov_b64 s[4:5], 0
                                        ; implicit-def: $sgpr10
	s_and_saveexec_b64 s[8:9], s[6:7]
	s_xor_b64 s[6:7], exec, s[8:9]
	s_cbranch_execnz .LBB3_289
; %bb.33:
	s_or_saveexec_b64 s[6:7], s[6:7]
	v_mov_b32_e32 v7, s10
	s_xor_b64 exec, exec, s[6:7]
	s_cbranch_execnz .LBB3_292
.LBB3_34:
	s_or_b64 exec, exec, s[6:7]
	s_and_saveexec_b64 s[6:7], s[4:5]
	s_cbranch_execz .LBB3_36
.LBB3_35:
	v_and_b32_e32 v7, 7, v8
	v_ffbh_u32_e32 v19, v7
	v_min_u32_e32 v19, 32, v19
	v_lshrrev_b16_e32 v18, 3, v8
	v_subrev_u32_e32 v20, 28, v19
	v_and_b32_e32 v18, 15, v18
	v_lshlrev_b32_e32 v20, v20, v7
	v_sub_u32_e32 v19, 29, v19
	v_and_b32_e32 v20, 7, v20
	v_cmp_eq_u16_e32 vcc, 0, v18
	v_lshrrev_b16_e32 v17, 7, v8
	v_cndmask_b32_e32 v7, v7, v20, vcc
	v_cndmask_b32_e32 v18, v18, v19, vcc
	v_mov_b32_e32 v19, 0x3b800000
	v_lshlrev_b32_e32 v7, 20, v7
	v_lshlrev_b32_e32 v17, 31, v17
	v_lshl_add_u32 v18, v18, 23, v19
	v_or3_b32 v7, v17, v18, v7
.LBB3_36:
	s_or_b64 exec, exec, s[6:7]
	s_movk_i32 s4, 0x7f
	v_cmp_gt_i16_sdwa s[6:7], v8, s4 src0_sel:BYTE_1 src1_sel:DWORD
	s_mov_b64 s[4:5], 0
                                        ; implicit-def: $sgpr10
	s_and_saveexec_b64 s[8:9], s[6:7]
	s_xor_b64 s[6:7], exec, s[8:9]
	s_cbranch_execnz .LBB3_293
; %bb.37:
	s_or_saveexec_b64 s[6:7], s[6:7]
	v_mov_b32_e32 v17, s10
	s_xor_b64 exec, exec, s[6:7]
	s_cbranch_execnz .LBB3_296
.LBB3_38:
	s_or_b64 exec, exec, s[6:7]
	s_and_saveexec_b64 s[6:7], s[4:5]
	s_cbranch_execz .LBB3_40
.LBB3_39:
	v_mov_b32_e32 v17, 7
	v_and_b32_sdwa v17, v8, v17 dst_sel:DWORD dst_unused:UNUSED_PAD src0_sel:BYTE_1 src1_sel:DWORD
	v_ffbh_u32_e32 v20, v17
	v_min_u32_e32 v20, 32, v20
	v_lshrrev_b16_e32 v19, 11, v8
	v_subrev_u32_e32 v21, 28, v20
	v_and_b32_e32 v19, 15, v19
	v_lshlrev_b32_e32 v21, v21, v17
	v_sub_u32_e32 v20, 29, v20
	v_and_b32_e32 v21, 7, v21
	v_cmp_eq_u16_e32 vcc, 0, v19
	v_lshrrev_b16_e32 v18, 15, v8
	v_cndmask_b32_e32 v17, v17, v21, vcc
	v_cndmask_b32_e32 v19, v19, v20, vcc
	v_mov_b32_e32 v20, 0x3b800000
	v_lshlrev_b32_e32 v17, 20, v17
	v_lshlrev_b32_e32 v18, 31, v18
	v_lshl_add_u32 v19, v19, 23, v20
	v_or3_b32 v17, v18, v19, v17
.LBB3_40:
	s_or_b64 exec, exec, s[6:7]
	s_movk_i32 s4, 0xff
	v_and_b32_sdwa v19, v8, s4 dst_sel:DWORD dst_unused:UNUSED_PAD src0_sel:WORD_1 src1_sel:DWORD
	s_movk_i32 s4, 0x7f
	v_cmp_lt_i16_e32 vcc, s4, v19
	s_mov_b64 s[4:5], 0
                                        ; implicit-def: $sgpr10
	s_and_saveexec_b64 s[6:7], vcc
	s_xor_b64 s[6:7], exec, s[6:7]
	s_cbranch_execnz .LBB3_297
; %bb.41:
	s_or_saveexec_b64 s[6:7], s[6:7]
	v_mov_b32_e32 v18, s10
	s_xor_b64 exec, exec, s[6:7]
	s_cbranch_execnz .LBB3_300
.LBB3_42:
	s_or_b64 exec, exec, s[6:7]
	s_and_saveexec_b64 s[6:7], s[4:5]
	s_cbranch_execz .LBB3_44
.LBB3_43:
	v_mov_b32_e32 v18, 7
	v_and_b32_sdwa v19, v8, v18 dst_sel:DWORD dst_unused:UNUSED_PAD src0_sel:WORD_1 src1_sel:DWORD
	v_ffbh_u32_e32 v21, v19
	v_mov_b32_e32 v20, 3
	v_min_u32_e32 v21, 32, v21
	v_lshrrev_b16_sdwa v20, v20, v8 dst_sel:DWORD dst_unused:UNUSED_PAD src0_sel:DWORD src1_sel:WORD_1
	v_subrev_u32_e32 v22, 28, v21
	v_and_b32_e32 v20, 15, v20
	v_lshlrev_b32_e32 v22, v22, v19
	v_sub_u32_e32 v21, 29, v21
	v_and_b32_e32 v22, 7, v22
	v_cmp_eq_u16_e32 vcc, 0, v20
	v_lshrrev_b16_sdwa v18, v18, v8 dst_sel:DWORD dst_unused:UNUSED_PAD src0_sel:DWORD src1_sel:WORD_1
	v_cndmask_b32_e32 v19, v19, v22, vcc
	v_cndmask_b32_e32 v20, v20, v21, vcc
	v_mov_b32_e32 v21, 0x3b800000
	v_lshlrev_b32_e32 v19, 20, v19
	v_lshlrev_b32_e32 v18, 31, v18
	v_lshl_add_u32 v20, v20, 23, v21
	v_or3_b32 v18, v18, v20, v19
.LBB3_44:
	s_or_b64 exec, exec, s[6:7]
	v_mov_b32_e32 v19, 8
	v_lshrrev_b16_sdwa v20, v19, v8 dst_sel:DWORD dst_unused:UNUSED_PAD src0_sel:DWORD src1_sel:WORD_1
	s_movk_i32 s4, 0x7f
	v_cmp_lt_i16_e32 vcc, s4, v20
	s_mov_b64 s[4:5], 0
                                        ; implicit-def: $sgpr10
	s_and_saveexec_b64 s[6:7], vcc
	s_xor_b64 s[6:7], exec, s[6:7]
	s_cbranch_execnz .LBB3_301
; %bb.45:
	s_or_saveexec_b64 s[6:7], s[6:7]
	v_mov_b32_e32 v19, s10
	s_xor_b64 exec, exec, s[6:7]
	s_cbranch_execnz .LBB3_304
.LBB3_46:
	s_or_b64 exec, exec, s[6:7]
	s_and_saveexec_b64 s[6:7], s[4:5]
	s_cbranch_execz .LBB3_48
.LBB3_47:
	v_mov_b32_e32 v19, 8
	v_lshrrev_b16_sdwa v19, v19, v8 dst_sel:DWORD dst_unused:UNUSED_PAD src0_sel:DWORD src1_sel:WORD_1
	v_and_b32_e32 v19, 7, v19
	v_mov_b32_e32 v20, 15
	v_mov_b32_e32 v21, 11
	v_lshrrev_b16_sdwa v20, v20, v8 dst_sel:DWORD dst_unused:UNUSED_PAD src0_sel:DWORD src1_sel:WORD_1
	v_lshrrev_b16_sdwa v8, v21, v8 dst_sel:DWORD dst_unused:UNUSED_PAD src0_sel:DWORD src1_sel:WORD_1
	v_ffbh_u32_e32 v21, v19
	v_min_u32_e32 v21, 32, v21
	v_subrev_u32_e32 v22, 28, v21
	v_and_b32_e32 v8, 15, v8
	v_lshlrev_b32_e32 v22, v22, v19
	v_sub_u32_e32 v21, 29, v21
	v_and_b32_e32 v22, 7, v22
	v_cmp_eq_u16_e32 vcc, 0, v8
	v_cndmask_b32_e32 v19, v19, v22, vcc
	v_cndmask_b32_e32 v8, v8, v21, vcc
	v_mov_b32_e32 v21, 0x3b800000
	v_lshlrev_b32_e32 v19, 20, v19
	v_lshlrev_b32_e32 v20, 31, v20
	v_lshl_add_u32 v8, v8, 23, v21
	v_or3_b32 v19, v20, v8, v19
.LBB3_48:
	s_or_b64 exec, exec, s[6:7]
	s_movk_i32 s4, 0x7f
	v_cmp_gt_i16_sdwa s[6:7], v9, s4 src0_sel:BYTE_0 src1_sel:DWORD
	s_mov_b64 s[4:5], 0
                                        ; implicit-def: $sgpr10
	s_and_saveexec_b64 s[8:9], s[6:7]
	s_xor_b64 s[6:7], exec, s[8:9]
	s_cbranch_execnz .LBB3_305
; %bb.49:
	s_or_saveexec_b64 s[6:7], s[6:7]
	v_mov_b32_e32 v8, s10
	s_xor_b64 exec, exec, s[6:7]
	s_cbranch_execnz .LBB3_308
.LBB3_50:
	s_or_b64 exec, exec, s[6:7]
	s_and_saveexec_b64 s[6:7], s[4:5]
	s_cbranch_execz .LBB3_52
.LBB3_51:
	v_and_b32_e32 v8, 7, v9
	v_ffbh_u32_e32 v22, v8
	v_min_u32_e32 v22, 32, v22
	v_lshrrev_b16_e32 v21, 3, v9
	v_subrev_u32_e32 v23, 28, v22
	v_and_b32_e32 v21, 15, v21
	v_lshlrev_b32_e32 v23, v23, v8
	v_sub_u32_e32 v22, 29, v22
	v_and_b32_e32 v23, 7, v23
	v_cmp_eq_u16_e32 vcc, 0, v21
	v_lshrrev_b16_e32 v20, 7, v9
	v_cndmask_b32_e32 v8, v8, v23, vcc
	v_cndmask_b32_e32 v21, v21, v22, vcc
	v_mov_b32_e32 v22, 0x3b800000
	v_lshlrev_b32_e32 v8, 20, v8
	v_lshlrev_b32_e32 v20, 31, v20
	v_lshl_add_u32 v21, v21, 23, v22
	v_or3_b32 v8, v20, v21, v8
.LBB3_52:
	s_or_b64 exec, exec, s[6:7]
	s_movk_i32 s4, 0x7f
	v_cmp_gt_i16_sdwa s[6:7], v9, s4 src0_sel:BYTE_1 src1_sel:DWORD
	s_mov_b64 s[4:5], 0
                                        ; implicit-def: $sgpr10
	s_and_saveexec_b64 s[8:9], s[6:7]
	s_xor_b64 s[6:7], exec, s[8:9]
	s_cbranch_execnz .LBB3_309
; %bb.53:
	s_or_saveexec_b64 s[6:7], s[6:7]
	v_mov_b32_e32 v20, s10
	s_xor_b64 exec, exec, s[6:7]
	s_cbranch_execnz .LBB3_312
.LBB3_54:
	s_or_b64 exec, exec, s[6:7]
	s_and_saveexec_b64 s[6:7], s[4:5]
	s_cbranch_execz .LBB3_56
.LBB3_55:
	v_mov_b32_e32 v20, 7
	v_and_b32_sdwa v20, v9, v20 dst_sel:DWORD dst_unused:UNUSED_PAD src0_sel:BYTE_1 src1_sel:DWORD
	v_ffbh_u32_e32 v23, v20
	v_min_u32_e32 v23, 32, v23
	v_lshrrev_b16_e32 v22, 11, v9
	v_subrev_u32_e32 v24, 28, v23
	v_and_b32_e32 v22, 15, v22
	v_lshlrev_b32_e32 v24, v24, v20
	v_sub_u32_e32 v23, 29, v23
	v_and_b32_e32 v24, 7, v24
	v_cmp_eq_u16_e32 vcc, 0, v22
	v_lshrrev_b16_e32 v21, 15, v9
	v_cndmask_b32_e32 v20, v20, v24, vcc
	v_cndmask_b32_e32 v22, v22, v23, vcc
	v_mov_b32_e32 v23, 0x3b800000
	v_lshlrev_b32_e32 v20, 20, v20
	v_lshlrev_b32_e32 v21, 31, v21
	v_lshl_add_u32 v22, v22, 23, v23
	v_or3_b32 v20, v21, v22, v20
.LBB3_56:
	s_or_b64 exec, exec, s[6:7]
	s_movk_i32 s4, 0xff
	v_and_b32_sdwa v22, v9, s4 dst_sel:DWORD dst_unused:UNUSED_PAD src0_sel:WORD_1 src1_sel:DWORD
	s_movk_i32 s4, 0x7f
	v_cmp_lt_i16_e32 vcc, s4, v22
	s_mov_b64 s[4:5], 0
                                        ; implicit-def: $sgpr10
	s_and_saveexec_b64 s[6:7], vcc
	s_xor_b64 s[6:7], exec, s[6:7]
	s_cbranch_execnz .LBB3_313
; %bb.57:
	s_or_saveexec_b64 s[6:7], s[6:7]
	v_mov_b32_e32 v21, s10
	s_xor_b64 exec, exec, s[6:7]
	s_cbranch_execnz .LBB3_316
.LBB3_58:
	s_or_b64 exec, exec, s[6:7]
	s_and_saveexec_b64 s[6:7], s[4:5]
	s_cbranch_execz .LBB3_60
.LBB3_59:
	v_mov_b32_e32 v21, 7
	v_and_b32_sdwa v22, v9, v21 dst_sel:DWORD dst_unused:UNUSED_PAD src0_sel:WORD_1 src1_sel:DWORD
	v_ffbh_u32_e32 v24, v22
	v_mov_b32_e32 v23, 3
	v_min_u32_e32 v24, 32, v24
	v_lshrrev_b16_sdwa v23, v23, v9 dst_sel:DWORD dst_unused:UNUSED_PAD src0_sel:DWORD src1_sel:WORD_1
	v_subrev_u32_e32 v25, 28, v24
	v_and_b32_e32 v23, 15, v23
	v_lshlrev_b32_e32 v25, v25, v22
	v_sub_u32_e32 v24, 29, v24
	v_and_b32_e32 v25, 7, v25
	v_cmp_eq_u16_e32 vcc, 0, v23
	v_lshrrev_b16_sdwa v21, v21, v9 dst_sel:DWORD dst_unused:UNUSED_PAD src0_sel:DWORD src1_sel:WORD_1
	v_cndmask_b32_e32 v22, v22, v25, vcc
	v_cndmask_b32_e32 v23, v23, v24, vcc
	v_mov_b32_e32 v24, 0x3b800000
	v_lshlrev_b32_e32 v22, 20, v22
	v_lshlrev_b32_e32 v21, 31, v21
	v_lshl_add_u32 v23, v23, 23, v24
	v_or3_b32 v21, v21, v23, v22
.LBB3_60:
	s_or_b64 exec, exec, s[6:7]
	v_mov_b32_e32 v22, 8
	v_lshrrev_b16_sdwa v23, v22, v9 dst_sel:DWORD dst_unused:UNUSED_PAD src0_sel:DWORD src1_sel:WORD_1
	s_movk_i32 s4, 0x7f
	v_cmp_lt_i16_e32 vcc, s4, v23
	s_mov_b64 s[4:5], 0
                                        ; implicit-def: $sgpr10
	s_and_saveexec_b64 s[6:7], vcc
	s_xor_b64 s[6:7], exec, s[6:7]
	s_cbranch_execnz .LBB3_317
; %bb.61:
	s_or_saveexec_b64 s[6:7], s[6:7]
	v_mov_b32_e32 v22, s10
	s_xor_b64 exec, exec, s[6:7]
	s_cbranch_execnz .LBB3_320
.LBB3_62:
	s_or_b64 exec, exec, s[6:7]
	s_and_saveexec_b64 s[6:7], s[4:5]
	s_cbranch_execz .LBB3_64
.LBB3_63:
	v_mov_b32_e32 v22, 8
	v_lshrrev_b16_sdwa v22, v22, v9 dst_sel:DWORD dst_unused:UNUSED_PAD src0_sel:DWORD src1_sel:WORD_1
	v_and_b32_e32 v22, 7, v22
	v_mov_b32_e32 v23, 15
	v_mov_b32_e32 v24, 11
	v_lshrrev_b16_sdwa v23, v23, v9 dst_sel:DWORD dst_unused:UNUSED_PAD src0_sel:DWORD src1_sel:WORD_1
	v_lshrrev_b16_sdwa v9, v24, v9 dst_sel:DWORD dst_unused:UNUSED_PAD src0_sel:DWORD src1_sel:WORD_1
	v_ffbh_u32_e32 v24, v22
	v_min_u32_e32 v24, 32, v24
	v_subrev_u32_e32 v25, 28, v24
	v_and_b32_e32 v9, 15, v9
	v_lshlrev_b32_e32 v25, v25, v22
	v_sub_u32_e32 v24, 29, v24
	v_and_b32_e32 v25, 7, v25
	v_cmp_eq_u16_e32 vcc, 0, v9
	v_cndmask_b32_e32 v22, v22, v25, vcc
	v_cndmask_b32_e32 v9, v9, v24, vcc
	v_mov_b32_e32 v24, 0x3b800000
	v_lshlrev_b32_e32 v22, 20, v22
	v_lshlrev_b32_e32 v23, 31, v23
	v_lshl_add_u32 v9, v9, 23, v24
	v_or3_b32 v22, v23, v9, v22
.LBB3_64:
	s_or_b64 exec, exec, s[6:7]
	v_cvt_pkrtz_f16_f32 v24, v2, v3
	v_cvt_pkrtz_f16_f32 v25, v12, v13
	;; [unrolled: 1-line block ×8, first 2 shown]
	flat_store_dwordx4 v[4:5], v[24:27] offset:128
	flat_store_dwordx4 v[4:5], v[6:9] offset:144
	flat_load_dwordx2 v[2:3], v[0:1] offset:32
	s_nop 0
	flat_load_dwordx4 v[6:9], v[0:1] offset:44
	flat_load_dwordx2 v[16:17], v[0:1] offset:16
	flat_load_dwordx3 v[12:14], v[0:1]
	s_movk_i32 s4, 0x7f
                                        ; implicit-def: $sgpr10
	s_waitcnt vmcnt(0) lgkmcnt(0)
	v_add_u32_e32 v9, 16, v9
	v_sub_u32_e32 v3, v16, v3
	v_add_u32_e32 v2, v2, v6
	v_sub_u32_e32 v6, v12, v8
	v_ashrrev_i32_e32 v8, 31, v9
	v_add3_u32 v3, v3, v7, 16
	v_lshrrev_b32_e32 v7, 28, v8
	v_ashrrev_i32_e32 v8, 31, v3
	v_lshrrev_b32_e32 v8, 28, v8
	v_sub_u32_e32 v12, v3, v14
	v_add_u32_e32 v7, v9, v7
	v_add_u32_e32 v8, v3, v8
	v_sub_u32_e32 v2, v17, v2
	v_lshl_add_u32 v6, v12, 8, v6
	v_lshrrev_b32_e32 v12, 4, v7
	v_and_b32_e32 v8, 0xffffff0, v8
	v_add_u32_e32 v2, v2, v12
	v_sub_u32_e32 v3, v3, v8
	v_xor_b32_e32 v2, v2, v3
	v_and_b32_e32 v7, -16, v7
	v_sub_u32_e32 v2, v2, v13
	v_sub_u32_e32 v7, v9, v7
	v_lshlrev_b32_e32 v2, 4, v2
	v_add3_u32 v2, v6, v7, v2
	v_ashrrev_i32_e32 v3, 31, v2
	v_add_co_u32_e32 v2, vcc, v10, v2
	v_addc_co_u32_e32 v3, vcc, v11, v3, vcc
	flat_load_dwordx4 v[6:9], v[2:3]
	s_waitcnt vmcnt(0) lgkmcnt(0)
	v_cmp_gt_i16_sdwa s[6:7], v6, s4 src0_sel:BYTE_0 src1_sel:DWORD
	s_mov_b64 s[4:5], 0
	s_and_saveexec_b64 s[8:9], s[6:7]
	s_xor_b64 s[6:7], exec, s[8:9]
	s_cbranch_execnz .LBB3_321
; %bb.65:
	s_or_saveexec_b64 s[6:7], s[6:7]
	v_mov_b32_e32 v2, s10
	s_xor_b64 exec, exec, s[6:7]
	s_cbranch_execnz .LBB3_324
.LBB3_66:
	s_or_b64 exec, exec, s[6:7]
	s_and_saveexec_b64 s[6:7], s[4:5]
	s_cbranch_execz .LBB3_68
.LBB3_67:
	v_and_b32_e32 v2, 7, v6
	v_ffbh_u32_e32 v13, v2
	v_min_u32_e32 v13, 32, v13
	v_lshrrev_b16_e32 v12, 3, v6
	v_subrev_u32_e32 v14, 28, v13
	v_and_b32_e32 v12, 15, v12
	v_lshlrev_b32_e32 v14, v14, v2
	v_sub_u32_e32 v13, 29, v13
	v_and_b32_e32 v14, 7, v14
	v_cmp_eq_u16_e32 vcc, 0, v12
	v_lshrrev_b16_e32 v3, 7, v6
	v_cndmask_b32_e32 v2, v2, v14, vcc
	v_cndmask_b32_e32 v12, v12, v13, vcc
	v_mov_b32_e32 v13, 0x3b800000
	v_lshlrev_b32_e32 v2, 20, v2
	v_lshlrev_b32_e32 v3, 31, v3
	v_lshl_add_u32 v12, v12, 23, v13
	v_or3_b32 v2, v3, v12, v2
.LBB3_68:
	s_or_b64 exec, exec, s[6:7]
	s_movk_i32 s4, 0x7f
	v_cmp_gt_i16_sdwa s[6:7], v6, s4 src0_sel:BYTE_1 src1_sel:DWORD
	s_mov_b64 s[4:5], 0
                                        ; implicit-def: $sgpr10
	s_and_saveexec_b64 s[8:9], s[6:7]
	s_xor_b64 s[6:7], exec, s[8:9]
	s_cbranch_execnz .LBB3_325
; %bb.69:
	s_or_saveexec_b64 s[6:7], s[6:7]
	v_mov_b32_e32 v3, s10
	s_xor_b64 exec, exec, s[6:7]
	s_cbranch_execnz .LBB3_328
.LBB3_70:
	s_or_b64 exec, exec, s[6:7]
	s_and_saveexec_b64 s[6:7], s[4:5]
	s_cbranch_execz .LBB3_72
.LBB3_71:
	v_mov_b32_e32 v3, 7
	v_and_b32_sdwa v3, v6, v3 dst_sel:DWORD dst_unused:UNUSED_PAD src0_sel:BYTE_1 src1_sel:DWORD
	v_ffbh_u32_e32 v14, v3
	v_min_u32_e32 v14, 32, v14
	v_lshrrev_b16_e32 v13, 11, v6
	v_subrev_u32_e32 v15, 28, v14
	v_and_b32_e32 v13, 15, v13
	v_lshlrev_b32_e32 v15, v15, v3
	v_sub_u32_e32 v14, 29, v14
	v_and_b32_e32 v15, 7, v15
	v_cmp_eq_u16_e32 vcc, 0, v13
	v_lshrrev_b16_e32 v12, 15, v6
	v_cndmask_b32_e32 v3, v3, v15, vcc
	v_cndmask_b32_e32 v13, v13, v14, vcc
	v_mov_b32_e32 v14, 0x3b800000
	v_lshlrev_b32_e32 v3, 20, v3
	v_lshlrev_b32_e32 v12, 31, v12
	v_lshl_add_u32 v13, v13, 23, v14
	v_or3_b32 v3, v12, v13, v3
.LBB3_72:
	s_or_b64 exec, exec, s[6:7]
	s_movk_i32 s4, 0xff
	v_and_b32_sdwa v13, v6, s4 dst_sel:DWORD dst_unused:UNUSED_PAD src0_sel:WORD_1 src1_sel:DWORD
	s_movk_i32 s4, 0x7f
	v_cmp_lt_i16_e32 vcc, s4, v13
	s_mov_b64 s[4:5], 0
                                        ; implicit-def: $sgpr10
	s_and_saveexec_b64 s[6:7], vcc
	s_xor_b64 s[6:7], exec, s[6:7]
	s_cbranch_execnz .LBB3_329
; %bb.73:
	s_or_saveexec_b64 s[6:7], s[6:7]
	v_mov_b32_e32 v12, s10
	s_xor_b64 exec, exec, s[6:7]
	s_cbranch_execnz .LBB3_332
.LBB3_74:
	s_or_b64 exec, exec, s[6:7]
	s_and_saveexec_b64 s[6:7], s[4:5]
	s_cbranch_execz .LBB3_76
.LBB3_75:
	v_mov_b32_e32 v12, 7
	v_and_b32_sdwa v13, v6, v12 dst_sel:DWORD dst_unused:UNUSED_PAD src0_sel:WORD_1 src1_sel:DWORD
	v_ffbh_u32_e32 v15, v13
	v_mov_b32_e32 v14, 3
	v_min_u32_e32 v15, 32, v15
	v_lshrrev_b16_sdwa v14, v14, v6 dst_sel:DWORD dst_unused:UNUSED_PAD src0_sel:DWORD src1_sel:WORD_1
	v_subrev_u32_e32 v16, 28, v15
	v_and_b32_e32 v14, 15, v14
	v_lshlrev_b32_e32 v16, v16, v13
	v_sub_u32_e32 v15, 29, v15
	v_and_b32_e32 v16, 7, v16
	v_cmp_eq_u16_e32 vcc, 0, v14
	v_lshrrev_b16_sdwa v12, v12, v6 dst_sel:DWORD dst_unused:UNUSED_PAD src0_sel:DWORD src1_sel:WORD_1
	v_cndmask_b32_e32 v13, v13, v16, vcc
	v_cndmask_b32_e32 v14, v14, v15, vcc
	v_mov_b32_e32 v15, 0x3b800000
	v_lshlrev_b32_e32 v13, 20, v13
	v_lshlrev_b32_e32 v12, 31, v12
	v_lshl_add_u32 v14, v14, 23, v15
	v_or3_b32 v12, v12, v14, v13
.LBB3_76:
	s_or_b64 exec, exec, s[6:7]
	v_mov_b32_e32 v13, 8
	v_lshrrev_b16_sdwa v14, v13, v6 dst_sel:DWORD dst_unused:UNUSED_PAD src0_sel:DWORD src1_sel:WORD_1
	s_movk_i32 s4, 0x7f
	v_cmp_lt_i16_e32 vcc, s4, v14
	s_mov_b64 s[4:5], 0
                                        ; implicit-def: $sgpr10
	s_and_saveexec_b64 s[6:7], vcc
	s_xor_b64 s[6:7], exec, s[6:7]
	s_cbranch_execnz .LBB3_333
; %bb.77:
	s_or_saveexec_b64 s[6:7], s[6:7]
	v_mov_b32_e32 v13, s10
	s_xor_b64 exec, exec, s[6:7]
	s_cbranch_execnz .LBB3_336
.LBB3_78:
	s_or_b64 exec, exec, s[6:7]
	s_and_saveexec_b64 s[6:7], s[4:5]
	s_cbranch_execz .LBB3_80
.LBB3_79:
	v_mov_b32_e32 v13, 8
	v_lshrrev_b16_sdwa v13, v13, v6 dst_sel:DWORD dst_unused:UNUSED_PAD src0_sel:DWORD src1_sel:WORD_1
	v_and_b32_e32 v13, 7, v13
	v_mov_b32_e32 v14, 15
	v_mov_b32_e32 v15, 11
	v_lshrrev_b16_sdwa v14, v14, v6 dst_sel:DWORD dst_unused:UNUSED_PAD src0_sel:DWORD src1_sel:WORD_1
	v_lshrrev_b16_sdwa v6, v15, v6 dst_sel:DWORD dst_unused:UNUSED_PAD src0_sel:DWORD src1_sel:WORD_1
	v_ffbh_u32_e32 v15, v13
	v_min_u32_e32 v15, 32, v15
	v_subrev_u32_e32 v16, 28, v15
	v_and_b32_e32 v6, 15, v6
	v_lshlrev_b32_e32 v16, v16, v13
	v_sub_u32_e32 v15, 29, v15
	v_and_b32_e32 v16, 7, v16
	v_cmp_eq_u16_e32 vcc, 0, v6
	v_cndmask_b32_e32 v13, v13, v16, vcc
	v_cndmask_b32_e32 v6, v6, v15, vcc
	v_mov_b32_e32 v15, 0x3b800000
	v_lshlrev_b32_e32 v13, 20, v13
	v_lshlrev_b32_e32 v14, 31, v14
	v_lshl_add_u32 v6, v6, 23, v15
	v_or3_b32 v13, v14, v6, v13
.LBB3_80:
	s_or_b64 exec, exec, s[6:7]
	s_movk_i32 s4, 0x7f
	v_cmp_gt_i16_sdwa s[6:7], v7, s4 src0_sel:BYTE_0 src1_sel:DWORD
	s_mov_b64 s[4:5], 0
                                        ; implicit-def: $sgpr10
	s_and_saveexec_b64 s[8:9], s[6:7]
	s_xor_b64 s[6:7], exec, s[8:9]
	s_cbranch_execnz .LBB3_337
; %bb.81:
	s_or_saveexec_b64 s[6:7], s[6:7]
	v_mov_b32_e32 v6, s10
	s_xor_b64 exec, exec, s[6:7]
	s_cbranch_execnz .LBB3_340
.LBB3_82:
	s_or_b64 exec, exec, s[6:7]
	s_and_saveexec_b64 s[6:7], s[4:5]
	s_cbranch_execz .LBB3_84
.LBB3_83:
	v_and_b32_e32 v6, 7, v7
	v_ffbh_u32_e32 v16, v6
	v_min_u32_e32 v16, 32, v16
	v_lshrrev_b16_e32 v15, 3, v7
	v_subrev_u32_e32 v17, 28, v16
	v_and_b32_e32 v15, 15, v15
	v_lshlrev_b32_e32 v17, v17, v6
	v_sub_u32_e32 v16, 29, v16
	v_and_b32_e32 v17, 7, v17
	v_cmp_eq_u16_e32 vcc, 0, v15
	v_lshrrev_b16_e32 v14, 7, v7
	v_cndmask_b32_e32 v6, v6, v17, vcc
	v_cndmask_b32_e32 v15, v15, v16, vcc
	v_mov_b32_e32 v16, 0x3b800000
	v_lshlrev_b32_e32 v6, 20, v6
	v_lshlrev_b32_e32 v14, 31, v14
	v_lshl_add_u32 v15, v15, 23, v16
	v_or3_b32 v6, v14, v15, v6
.LBB3_84:
	s_or_b64 exec, exec, s[6:7]
	s_movk_i32 s4, 0x7f
	v_cmp_gt_i16_sdwa s[6:7], v7, s4 src0_sel:BYTE_1 src1_sel:DWORD
	s_mov_b64 s[4:5], 0
                                        ; implicit-def: $sgpr10
	s_and_saveexec_b64 s[8:9], s[6:7]
	s_xor_b64 s[6:7], exec, s[8:9]
	s_cbranch_execnz .LBB3_341
; %bb.85:
	s_or_saveexec_b64 s[6:7], s[6:7]
	v_mov_b32_e32 v14, s10
	s_xor_b64 exec, exec, s[6:7]
	s_cbranch_execnz .LBB3_344
.LBB3_86:
	s_or_b64 exec, exec, s[6:7]
	s_and_saveexec_b64 s[6:7], s[4:5]
	s_cbranch_execz .LBB3_88
.LBB3_87:
	v_mov_b32_e32 v14, 7
	v_and_b32_sdwa v14, v7, v14 dst_sel:DWORD dst_unused:UNUSED_PAD src0_sel:BYTE_1 src1_sel:DWORD
	v_ffbh_u32_e32 v17, v14
	v_min_u32_e32 v17, 32, v17
	v_lshrrev_b16_e32 v16, 11, v7
	v_subrev_u32_e32 v18, 28, v17
	v_and_b32_e32 v16, 15, v16
	v_lshlrev_b32_e32 v18, v18, v14
	v_sub_u32_e32 v17, 29, v17
	v_and_b32_e32 v18, 7, v18
	v_cmp_eq_u16_e32 vcc, 0, v16
	v_lshrrev_b16_e32 v15, 15, v7
	v_cndmask_b32_e32 v14, v14, v18, vcc
	v_cndmask_b32_e32 v16, v16, v17, vcc
	v_mov_b32_e32 v17, 0x3b800000
	v_lshlrev_b32_e32 v14, 20, v14
	v_lshlrev_b32_e32 v15, 31, v15
	v_lshl_add_u32 v16, v16, 23, v17
	v_or3_b32 v14, v15, v16, v14
.LBB3_88:
	s_or_b64 exec, exec, s[6:7]
	s_movk_i32 s4, 0xff
	v_and_b32_sdwa v16, v7, s4 dst_sel:DWORD dst_unused:UNUSED_PAD src0_sel:WORD_1 src1_sel:DWORD
	s_movk_i32 s4, 0x7f
	v_cmp_lt_i16_e32 vcc, s4, v16
	s_mov_b64 s[4:5], 0
                                        ; implicit-def: $sgpr10
	s_and_saveexec_b64 s[6:7], vcc
	s_xor_b64 s[6:7], exec, s[6:7]
	s_cbranch_execnz .LBB3_345
; %bb.89:
	s_or_saveexec_b64 s[6:7], s[6:7]
	v_mov_b32_e32 v15, s10
	s_xor_b64 exec, exec, s[6:7]
	s_cbranch_execnz .LBB3_348
.LBB3_90:
	s_or_b64 exec, exec, s[6:7]
	s_and_saveexec_b64 s[6:7], s[4:5]
	s_cbranch_execz .LBB3_92
.LBB3_91:
	v_mov_b32_e32 v15, 7
	v_and_b32_sdwa v16, v7, v15 dst_sel:DWORD dst_unused:UNUSED_PAD src0_sel:WORD_1 src1_sel:DWORD
	v_ffbh_u32_e32 v18, v16
	v_mov_b32_e32 v17, 3
	v_min_u32_e32 v18, 32, v18
	v_lshrrev_b16_sdwa v17, v17, v7 dst_sel:DWORD dst_unused:UNUSED_PAD src0_sel:DWORD src1_sel:WORD_1
	v_subrev_u32_e32 v19, 28, v18
	v_and_b32_e32 v17, 15, v17
	v_lshlrev_b32_e32 v19, v19, v16
	v_sub_u32_e32 v18, 29, v18
	v_and_b32_e32 v19, 7, v19
	v_cmp_eq_u16_e32 vcc, 0, v17
	v_lshrrev_b16_sdwa v15, v15, v7 dst_sel:DWORD dst_unused:UNUSED_PAD src0_sel:DWORD src1_sel:WORD_1
	v_cndmask_b32_e32 v16, v16, v19, vcc
	v_cndmask_b32_e32 v17, v17, v18, vcc
	v_mov_b32_e32 v18, 0x3b800000
	v_lshlrev_b32_e32 v16, 20, v16
	v_lshlrev_b32_e32 v15, 31, v15
	v_lshl_add_u32 v17, v17, 23, v18
	v_or3_b32 v15, v15, v17, v16
.LBB3_92:
	s_or_b64 exec, exec, s[6:7]
	v_mov_b32_e32 v16, 8
	v_lshrrev_b16_sdwa v17, v16, v7 dst_sel:DWORD dst_unused:UNUSED_PAD src0_sel:DWORD src1_sel:WORD_1
	s_movk_i32 s4, 0x7f
	v_cmp_lt_i16_e32 vcc, s4, v17
	s_mov_b64 s[4:5], 0
                                        ; implicit-def: $sgpr10
	s_and_saveexec_b64 s[6:7], vcc
	s_xor_b64 s[6:7], exec, s[6:7]
	s_cbranch_execnz .LBB3_349
; %bb.93:
	s_or_saveexec_b64 s[6:7], s[6:7]
	v_mov_b32_e32 v16, s10
	s_xor_b64 exec, exec, s[6:7]
	s_cbranch_execnz .LBB3_352
.LBB3_94:
	s_or_b64 exec, exec, s[6:7]
	s_and_saveexec_b64 s[6:7], s[4:5]
	s_cbranch_execz .LBB3_96
.LBB3_95:
	v_mov_b32_e32 v16, 8
	v_lshrrev_b16_sdwa v16, v16, v7 dst_sel:DWORD dst_unused:UNUSED_PAD src0_sel:DWORD src1_sel:WORD_1
	v_and_b32_e32 v16, 7, v16
	v_mov_b32_e32 v17, 15
	v_mov_b32_e32 v18, 11
	v_lshrrev_b16_sdwa v17, v17, v7 dst_sel:DWORD dst_unused:UNUSED_PAD src0_sel:DWORD src1_sel:WORD_1
	v_lshrrev_b16_sdwa v7, v18, v7 dst_sel:DWORD dst_unused:UNUSED_PAD src0_sel:DWORD src1_sel:WORD_1
	v_ffbh_u32_e32 v18, v16
	v_min_u32_e32 v18, 32, v18
	v_subrev_u32_e32 v19, 28, v18
	v_and_b32_e32 v7, 15, v7
	v_lshlrev_b32_e32 v19, v19, v16
	v_sub_u32_e32 v18, 29, v18
	v_and_b32_e32 v19, 7, v19
	v_cmp_eq_u16_e32 vcc, 0, v7
	v_cndmask_b32_e32 v16, v16, v19, vcc
	v_cndmask_b32_e32 v7, v7, v18, vcc
	v_mov_b32_e32 v18, 0x3b800000
	v_lshlrev_b32_e32 v16, 20, v16
	v_lshlrev_b32_e32 v17, 31, v17
	v_lshl_add_u32 v7, v7, 23, v18
	v_or3_b32 v16, v17, v7, v16
.LBB3_96:
	s_or_b64 exec, exec, s[6:7]
	s_movk_i32 s4, 0x7f
	v_cmp_gt_i16_sdwa s[6:7], v8, s4 src0_sel:BYTE_0 src1_sel:DWORD
	s_mov_b64 s[4:5], 0
                                        ; implicit-def: $sgpr10
	s_and_saveexec_b64 s[8:9], s[6:7]
	s_xor_b64 s[6:7], exec, s[8:9]
	s_cbranch_execnz .LBB3_353
; %bb.97:
	s_or_saveexec_b64 s[6:7], s[6:7]
	v_mov_b32_e32 v7, s10
	s_xor_b64 exec, exec, s[6:7]
	s_cbranch_execnz .LBB3_356
.LBB3_98:
	s_or_b64 exec, exec, s[6:7]
	s_and_saveexec_b64 s[6:7], s[4:5]
	s_cbranch_execz .LBB3_100
.LBB3_99:
	v_and_b32_e32 v7, 7, v8
	v_ffbh_u32_e32 v19, v7
	v_min_u32_e32 v19, 32, v19
	v_lshrrev_b16_e32 v18, 3, v8
	v_subrev_u32_e32 v20, 28, v19
	v_and_b32_e32 v18, 15, v18
	v_lshlrev_b32_e32 v20, v20, v7
	v_sub_u32_e32 v19, 29, v19
	v_and_b32_e32 v20, 7, v20
	v_cmp_eq_u16_e32 vcc, 0, v18
	v_lshrrev_b16_e32 v17, 7, v8
	v_cndmask_b32_e32 v7, v7, v20, vcc
	v_cndmask_b32_e32 v18, v18, v19, vcc
	v_mov_b32_e32 v19, 0x3b800000
	v_lshlrev_b32_e32 v7, 20, v7
	v_lshlrev_b32_e32 v17, 31, v17
	v_lshl_add_u32 v18, v18, 23, v19
	v_or3_b32 v7, v17, v18, v7
.LBB3_100:
	s_or_b64 exec, exec, s[6:7]
	s_movk_i32 s4, 0x7f
	v_cmp_gt_i16_sdwa s[6:7], v8, s4 src0_sel:BYTE_1 src1_sel:DWORD
	s_mov_b64 s[4:5], 0
                                        ; implicit-def: $sgpr10
	s_and_saveexec_b64 s[8:9], s[6:7]
	s_xor_b64 s[6:7], exec, s[8:9]
	s_cbranch_execnz .LBB3_357
; %bb.101:
	s_or_saveexec_b64 s[6:7], s[6:7]
	v_mov_b32_e32 v17, s10
	s_xor_b64 exec, exec, s[6:7]
	s_cbranch_execnz .LBB3_360
.LBB3_102:
	s_or_b64 exec, exec, s[6:7]
	s_and_saveexec_b64 s[6:7], s[4:5]
	s_cbranch_execz .LBB3_104
.LBB3_103:
	v_mov_b32_e32 v17, 7
	v_and_b32_sdwa v17, v8, v17 dst_sel:DWORD dst_unused:UNUSED_PAD src0_sel:BYTE_1 src1_sel:DWORD
	v_ffbh_u32_e32 v20, v17
	v_min_u32_e32 v20, 32, v20
	v_lshrrev_b16_e32 v19, 11, v8
	v_subrev_u32_e32 v21, 28, v20
	v_and_b32_e32 v19, 15, v19
	v_lshlrev_b32_e32 v21, v21, v17
	v_sub_u32_e32 v20, 29, v20
	v_and_b32_e32 v21, 7, v21
	v_cmp_eq_u16_e32 vcc, 0, v19
	v_lshrrev_b16_e32 v18, 15, v8
	v_cndmask_b32_e32 v17, v17, v21, vcc
	v_cndmask_b32_e32 v19, v19, v20, vcc
	v_mov_b32_e32 v20, 0x3b800000
	v_lshlrev_b32_e32 v17, 20, v17
	v_lshlrev_b32_e32 v18, 31, v18
	v_lshl_add_u32 v19, v19, 23, v20
	v_or3_b32 v17, v18, v19, v17
.LBB3_104:
	s_or_b64 exec, exec, s[6:7]
	s_movk_i32 s4, 0xff
	v_and_b32_sdwa v19, v8, s4 dst_sel:DWORD dst_unused:UNUSED_PAD src0_sel:WORD_1 src1_sel:DWORD
	s_movk_i32 s4, 0x7f
	v_cmp_lt_i16_e32 vcc, s4, v19
	s_mov_b64 s[4:5], 0
                                        ; implicit-def: $sgpr10
	s_and_saveexec_b64 s[6:7], vcc
	s_xor_b64 s[6:7], exec, s[6:7]
	s_cbranch_execnz .LBB3_361
; %bb.105:
	s_or_saveexec_b64 s[6:7], s[6:7]
	v_mov_b32_e32 v18, s10
	s_xor_b64 exec, exec, s[6:7]
	s_cbranch_execnz .LBB3_364
.LBB3_106:
	s_or_b64 exec, exec, s[6:7]
	s_and_saveexec_b64 s[6:7], s[4:5]
	s_cbranch_execz .LBB3_108
.LBB3_107:
	v_mov_b32_e32 v18, 7
	v_and_b32_sdwa v19, v8, v18 dst_sel:DWORD dst_unused:UNUSED_PAD src0_sel:WORD_1 src1_sel:DWORD
	v_ffbh_u32_e32 v21, v19
	v_mov_b32_e32 v20, 3
	v_min_u32_e32 v21, 32, v21
	v_lshrrev_b16_sdwa v20, v20, v8 dst_sel:DWORD dst_unused:UNUSED_PAD src0_sel:DWORD src1_sel:WORD_1
	v_subrev_u32_e32 v22, 28, v21
	v_and_b32_e32 v20, 15, v20
	v_lshlrev_b32_e32 v22, v22, v19
	v_sub_u32_e32 v21, 29, v21
	v_and_b32_e32 v22, 7, v22
	v_cmp_eq_u16_e32 vcc, 0, v20
	v_lshrrev_b16_sdwa v18, v18, v8 dst_sel:DWORD dst_unused:UNUSED_PAD src0_sel:DWORD src1_sel:WORD_1
	v_cndmask_b32_e32 v19, v19, v22, vcc
	v_cndmask_b32_e32 v20, v20, v21, vcc
	v_mov_b32_e32 v21, 0x3b800000
	v_lshlrev_b32_e32 v19, 20, v19
	v_lshlrev_b32_e32 v18, 31, v18
	v_lshl_add_u32 v20, v20, 23, v21
	v_or3_b32 v18, v18, v20, v19
.LBB3_108:
	s_or_b64 exec, exec, s[6:7]
	v_mov_b32_e32 v19, 8
	v_lshrrev_b16_sdwa v20, v19, v8 dst_sel:DWORD dst_unused:UNUSED_PAD src0_sel:DWORD src1_sel:WORD_1
	s_movk_i32 s4, 0x7f
	v_cmp_lt_i16_e32 vcc, s4, v20
	s_mov_b64 s[4:5], 0
                                        ; implicit-def: $sgpr10
	s_and_saveexec_b64 s[6:7], vcc
	s_xor_b64 s[6:7], exec, s[6:7]
	s_cbranch_execnz .LBB3_365
; %bb.109:
	s_or_saveexec_b64 s[6:7], s[6:7]
	v_mov_b32_e32 v19, s10
	s_xor_b64 exec, exec, s[6:7]
	s_cbranch_execnz .LBB3_368
.LBB3_110:
	s_or_b64 exec, exec, s[6:7]
	s_and_saveexec_b64 s[6:7], s[4:5]
	s_cbranch_execz .LBB3_112
.LBB3_111:
	v_mov_b32_e32 v19, 8
	v_lshrrev_b16_sdwa v19, v19, v8 dst_sel:DWORD dst_unused:UNUSED_PAD src0_sel:DWORD src1_sel:WORD_1
	v_and_b32_e32 v19, 7, v19
	v_mov_b32_e32 v20, 15
	v_mov_b32_e32 v21, 11
	v_lshrrev_b16_sdwa v20, v20, v8 dst_sel:DWORD dst_unused:UNUSED_PAD src0_sel:DWORD src1_sel:WORD_1
	v_lshrrev_b16_sdwa v8, v21, v8 dst_sel:DWORD dst_unused:UNUSED_PAD src0_sel:DWORD src1_sel:WORD_1
	v_ffbh_u32_e32 v21, v19
	v_min_u32_e32 v21, 32, v21
	v_subrev_u32_e32 v22, 28, v21
	v_and_b32_e32 v8, 15, v8
	v_lshlrev_b32_e32 v22, v22, v19
	v_sub_u32_e32 v21, 29, v21
	v_and_b32_e32 v22, 7, v22
	v_cmp_eq_u16_e32 vcc, 0, v8
	v_cndmask_b32_e32 v19, v19, v22, vcc
	v_cndmask_b32_e32 v8, v8, v21, vcc
	v_mov_b32_e32 v21, 0x3b800000
	v_lshlrev_b32_e32 v19, 20, v19
	v_lshlrev_b32_e32 v20, 31, v20
	v_lshl_add_u32 v8, v8, 23, v21
	v_or3_b32 v19, v20, v8, v19
.LBB3_112:
	s_or_b64 exec, exec, s[6:7]
	s_movk_i32 s4, 0x7f
	v_cmp_gt_i16_sdwa s[6:7], v9, s4 src0_sel:BYTE_0 src1_sel:DWORD
	s_mov_b64 s[4:5], 0
                                        ; implicit-def: $sgpr10
	s_and_saveexec_b64 s[8:9], s[6:7]
	s_xor_b64 s[6:7], exec, s[8:9]
	s_cbranch_execnz .LBB3_369
; %bb.113:
	s_or_saveexec_b64 s[6:7], s[6:7]
	v_mov_b32_e32 v8, s10
	s_xor_b64 exec, exec, s[6:7]
	s_cbranch_execnz .LBB3_372
.LBB3_114:
	s_or_b64 exec, exec, s[6:7]
	s_and_saveexec_b64 s[6:7], s[4:5]
	s_cbranch_execz .LBB3_116
.LBB3_115:
	v_and_b32_e32 v8, 7, v9
	v_ffbh_u32_e32 v22, v8
	v_min_u32_e32 v22, 32, v22
	v_lshrrev_b16_e32 v21, 3, v9
	v_subrev_u32_e32 v23, 28, v22
	v_and_b32_e32 v21, 15, v21
	v_lshlrev_b32_e32 v23, v23, v8
	v_sub_u32_e32 v22, 29, v22
	v_and_b32_e32 v23, 7, v23
	v_cmp_eq_u16_e32 vcc, 0, v21
	v_lshrrev_b16_e32 v20, 7, v9
	v_cndmask_b32_e32 v8, v8, v23, vcc
	v_cndmask_b32_e32 v21, v21, v22, vcc
	v_mov_b32_e32 v22, 0x3b800000
	v_lshlrev_b32_e32 v8, 20, v8
	v_lshlrev_b32_e32 v20, 31, v20
	v_lshl_add_u32 v21, v21, 23, v22
	v_or3_b32 v8, v20, v21, v8
.LBB3_116:
	s_or_b64 exec, exec, s[6:7]
	s_movk_i32 s4, 0x7f
	v_cmp_gt_i16_sdwa s[6:7], v9, s4 src0_sel:BYTE_1 src1_sel:DWORD
	s_mov_b64 s[4:5], 0
                                        ; implicit-def: $sgpr10
	s_and_saveexec_b64 s[8:9], s[6:7]
	s_xor_b64 s[6:7], exec, s[8:9]
	s_cbranch_execnz .LBB3_373
; %bb.117:
	s_or_saveexec_b64 s[6:7], s[6:7]
	v_mov_b32_e32 v20, s10
	s_xor_b64 exec, exec, s[6:7]
	s_cbranch_execnz .LBB3_376
.LBB3_118:
	s_or_b64 exec, exec, s[6:7]
	s_and_saveexec_b64 s[6:7], s[4:5]
	s_cbranch_execz .LBB3_120
.LBB3_119:
	v_mov_b32_e32 v20, 7
	v_and_b32_sdwa v20, v9, v20 dst_sel:DWORD dst_unused:UNUSED_PAD src0_sel:BYTE_1 src1_sel:DWORD
	v_ffbh_u32_e32 v23, v20
	v_min_u32_e32 v23, 32, v23
	v_lshrrev_b16_e32 v22, 11, v9
	v_subrev_u32_e32 v24, 28, v23
	v_and_b32_e32 v22, 15, v22
	v_lshlrev_b32_e32 v24, v24, v20
	v_sub_u32_e32 v23, 29, v23
	v_and_b32_e32 v24, 7, v24
	v_cmp_eq_u16_e32 vcc, 0, v22
	v_lshrrev_b16_e32 v21, 15, v9
	v_cndmask_b32_e32 v20, v20, v24, vcc
	v_cndmask_b32_e32 v22, v22, v23, vcc
	v_mov_b32_e32 v23, 0x3b800000
	v_lshlrev_b32_e32 v20, 20, v20
	v_lshlrev_b32_e32 v21, 31, v21
	v_lshl_add_u32 v22, v22, 23, v23
	v_or3_b32 v20, v21, v22, v20
.LBB3_120:
	s_or_b64 exec, exec, s[6:7]
	s_movk_i32 s4, 0xff
	v_and_b32_sdwa v22, v9, s4 dst_sel:DWORD dst_unused:UNUSED_PAD src0_sel:WORD_1 src1_sel:DWORD
	s_movk_i32 s4, 0x7f
	v_cmp_lt_i16_e32 vcc, s4, v22
	s_mov_b64 s[4:5], 0
                                        ; implicit-def: $sgpr10
	s_and_saveexec_b64 s[6:7], vcc
	s_xor_b64 s[6:7], exec, s[6:7]
	s_cbranch_execnz .LBB3_377
; %bb.121:
	s_or_saveexec_b64 s[6:7], s[6:7]
	v_mov_b32_e32 v21, s10
	s_xor_b64 exec, exec, s[6:7]
	s_cbranch_execnz .LBB3_380
.LBB3_122:
	s_or_b64 exec, exec, s[6:7]
	s_and_saveexec_b64 s[6:7], s[4:5]
	s_cbranch_execz .LBB3_124
.LBB3_123:
	v_mov_b32_e32 v21, 7
	v_and_b32_sdwa v22, v9, v21 dst_sel:DWORD dst_unused:UNUSED_PAD src0_sel:WORD_1 src1_sel:DWORD
	v_ffbh_u32_e32 v24, v22
	v_mov_b32_e32 v23, 3
	v_min_u32_e32 v24, 32, v24
	v_lshrrev_b16_sdwa v23, v23, v9 dst_sel:DWORD dst_unused:UNUSED_PAD src0_sel:DWORD src1_sel:WORD_1
	v_subrev_u32_e32 v25, 28, v24
	v_and_b32_e32 v23, 15, v23
	v_lshlrev_b32_e32 v25, v25, v22
	v_sub_u32_e32 v24, 29, v24
	v_and_b32_e32 v25, 7, v25
	v_cmp_eq_u16_e32 vcc, 0, v23
	v_lshrrev_b16_sdwa v21, v21, v9 dst_sel:DWORD dst_unused:UNUSED_PAD src0_sel:DWORD src1_sel:WORD_1
	v_cndmask_b32_e32 v22, v22, v25, vcc
	v_cndmask_b32_e32 v23, v23, v24, vcc
	v_mov_b32_e32 v24, 0x3b800000
	v_lshlrev_b32_e32 v22, 20, v22
	v_lshlrev_b32_e32 v21, 31, v21
	v_lshl_add_u32 v23, v23, 23, v24
	v_or3_b32 v21, v21, v23, v22
.LBB3_124:
	s_or_b64 exec, exec, s[6:7]
	v_mov_b32_e32 v22, 8
	v_lshrrev_b16_sdwa v23, v22, v9 dst_sel:DWORD dst_unused:UNUSED_PAD src0_sel:DWORD src1_sel:WORD_1
	s_movk_i32 s4, 0x7f
	v_cmp_lt_i16_e32 vcc, s4, v23
	s_mov_b64 s[4:5], 0
                                        ; implicit-def: $sgpr10
	s_and_saveexec_b64 s[6:7], vcc
	s_xor_b64 s[6:7], exec, s[6:7]
	s_cbranch_execnz .LBB3_381
; %bb.125:
	s_or_saveexec_b64 s[6:7], s[6:7]
	v_mov_b32_e32 v22, s10
	s_xor_b64 exec, exec, s[6:7]
	s_cbranch_execnz .LBB3_384
.LBB3_126:
	s_or_b64 exec, exec, s[6:7]
	s_and_saveexec_b64 s[6:7], s[4:5]
	s_cbranch_execz .LBB3_128
.LBB3_127:
	v_mov_b32_e32 v22, 8
	v_lshrrev_b16_sdwa v22, v22, v9 dst_sel:DWORD dst_unused:UNUSED_PAD src0_sel:DWORD src1_sel:WORD_1
	v_and_b32_e32 v22, 7, v22
	v_mov_b32_e32 v23, 15
	v_mov_b32_e32 v24, 11
	v_lshrrev_b16_sdwa v23, v23, v9 dst_sel:DWORD dst_unused:UNUSED_PAD src0_sel:DWORD src1_sel:WORD_1
	v_lshrrev_b16_sdwa v9, v24, v9 dst_sel:DWORD dst_unused:UNUSED_PAD src0_sel:DWORD src1_sel:WORD_1
	v_ffbh_u32_e32 v24, v22
	v_min_u32_e32 v24, 32, v24
	v_subrev_u32_e32 v25, 28, v24
	v_and_b32_e32 v9, 15, v9
	v_lshlrev_b32_e32 v25, v25, v22
	v_sub_u32_e32 v24, 29, v24
	v_and_b32_e32 v25, 7, v25
	v_cmp_eq_u16_e32 vcc, 0, v9
	v_cndmask_b32_e32 v22, v22, v25, vcc
	v_cndmask_b32_e32 v9, v9, v24, vcc
	v_mov_b32_e32 v24, 0x3b800000
	v_lshlrev_b32_e32 v22, 20, v22
	v_lshlrev_b32_e32 v23, 31, v23
	v_lshl_add_u32 v9, v9, 23, v24
	v_or3_b32 v22, v23, v9, v22
.LBB3_128:
	s_or_b64 exec, exec, s[6:7]
	v_cvt_pkrtz_f16_f32 v24, v2, v3
	v_cvt_pkrtz_f16_f32 v25, v12, v13
	;; [unrolled: 1-line block ×8, first 2 shown]
	flat_store_dwordx4 v[4:5], v[24:27] offset:160
	flat_store_dwordx4 v[4:5], v[6:9] offset:176
	flat_load_dwordx2 v[2:3], v[0:1] offset:32
	s_nop 0
	flat_load_dwordx4 v[6:9], v[0:1] offset:44
	flat_load_dwordx2 v[16:17], v[0:1] offset:16
	flat_load_dwordx3 v[12:14], v[0:1]
	s_movk_i32 s4, 0x7f
                                        ; implicit-def: $sgpr10
	s_waitcnt vmcnt(0) lgkmcnt(0)
	v_add_u32_e32 v9, 32, v9
	v_sub_u32_e32 v3, v16, v3
	v_add_u32_e32 v2, v2, v6
	v_sub_u32_e32 v6, v12, v8
	v_ashrrev_i32_e32 v8, 31, v9
	v_add3_u32 v3, v3, v7, 16
	v_lshrrev_b32_e32 v7, 28, v8
	v_ashrrev_i32_e32 v8, 31, v3
	v_lshrrev_b32_e32 v8, 28, v8
	v_sub_u32_e32 v12, v3, v14
	v_add_u32_e32 v7, v9, v7
	v_add_u32_e32 v8, v3, v8
	v_sub_u32_e32 v2, v17, v2
	v_lshl_add_u32 v6, v12, 8, v6
	v_lshrrev_b32_e32 v12, 4, v7
	v_and_b32_e32 v8, 0xffffff0, v8
	v_add_u32_e32 v2, v2, v12
	v_sub_u32_e32 v3, v3, v8
	v_xor_b32_e32 v2, v2, v3
	v_and_b32_e32 v7, -16, v7
	v_sub_u32_e32 v2, v2, v13
	v_sub_u32_e32 v7, v9, v7
	v_lshlrev_b32_e32 v2, 4, v2
	v_add3_u32 v2, v6, v7, v2
	v_ashrrev_i32_e32 v3, 31, v2
	v_add_co_u32_e32 v2, vcc, v10, v2
	v_addc_co_u32_e32 v3, vcc, v11, v3, vcc
	flat_load_dwordx4 v[6:9], v[2:3]
	s_waitcnt vmcnt(0) lgkmcnt(0)
	v_cmp_gt_i16_sdwa s[6:7], v6, s4 src0_sel:BYTE_0 src1_sel:DWORD
	s_mov_b64 s[4:5], 0
	s_and_saveexec_b64 s[8:9], s[6:7]
	s_xor_b64 s[6:7], exec, s[8:9]
	s_cbranch_execnz .LBB3_385
; %bb.129:
	s_or_saveexec_b64 s[6:7], s[6:7]
	v_mov_b32_e32 v2, s10
	s_xor_b64 exec, exec, s[6:7]
	s_cbranch_execnz .LBB3_388
.LBB3_130:
	s_or_b64 exec, exec, s[6:7]
	s_and_saveexec_b64 s[6:7], s[4:5]
	s_cbranch_execz .LBB3_132
.LBB3_131:
	v_and_b32_e32 v2, 7, v6
	v_ffbh_u32_e32 v13, v2
	v_min_u32_e32 v13, 32, v13
	v_lshrrev_b16_e32 v12, 3, v6
	v_subrev_u32_e32 v14, 28, v13
	v_and_b32_e32 v12, 15, v12
	v_lshlrev_b32_e32 v14, v14, v2
	v_sub_u32_e32 v13, 29, v13
	v_and_b32_e32 v14, 7, v14
	v_cmp_eq_u16_e32 vcc, 0, v12
	v_lshrrev_b16_e32 v3, 7, v6
	v_cndmask_b32_e32 v2, v2, v14, vcc
	v_cndmask_b32_e32 v12, v12, v13, vcc
	v_mov_b32_e32 v13, 0x3b800000
	v_lshlrev_b32_e32 v2, 20, v2
	v_lshlrev_b32_e32 v3, 31, v3
	v_lshl_add_u32 v12, v12, 23, v13
	v_or3_b32 v2, v3, v12, v2
.LBB3_132:
	s_or_b64 exec, exec, s[6:7]
	s_movk_i32 s4, 0x7f
	v_cmp_gt_i16_sdwa s[6:7], v6, s4 src0_sel:BYTE_1 src1_sel:DWORD
	s_mov_b64 s[4:5], 0
                                        ; implicit-def: $sgpr10
	s_and_saveexec_b64 s[8:9], s[6:7]
	s_xor_b64 s[6:7], exec, s[8:9]
	s_cbranch_execnz .LBB3_389
; %bb.133:
	s_or_saveexec_b64 s[6:7], s[6:7]
	v_mov_b32_e32 v3, s10
	s_xor_b64 exec, exec, s[6:7]
	s_cbranch_execnz .LBB3_392
.LBB3_134:
	s_or_b64 exec, exec, s[6:7]
	s_and_saveexec_b64 s[6:7], s[4:5]
	s_cbranch_execz .LBB3_136
.LBB3_135:
	v_mov_b32_e32 v3, 7
	v_and_b32_sdwa v3, v6, v3 dst_sel:DWORD dst_unused:UNUSED_PAD src0_sel:BYTE_1 src1_sel:DWORD
	v_ffbh_u32_e32 v14, v3
	v_min_u32_e32 v14, 32, v14
	v_lshrrev_b16_e32 v13, 11, v6
	v_subrev_u32_e32 v15, 28, v14
	v_and_b32_e32 v13, 15, v13
	v_lshlrev_b32_e32 v15, v15, v3
	v_sub_u32_e32 v14, 29, v14
	v_and_b32_e32 v15, 7, v15
	v_cmp_eq_u16_e32 vcc, 0, v13
	v_lshrrev_b16_e32 v12, 15, v6
	v_cndmask_b32_e32 v3, v3, v15, vcc
	v_cndmask_b32_e32 v13, v13, v14, vcc
	v_mov_b32_e32 v14, 0x3b800000
	v_lshlrev_b32_e32 v3, 20, v3
	v_lshlrev_b32_e32 v12, 31, v12
	v_lshl_add_u32 v13, v13, 23, v14
	v_or3_b32 v3, v12, v13, v3
.LBB3_136:
	s_or_b64 exec, exec, s[6:7]
	s_movk_i32 s4, 0xff
	v_and_b32_sdwa v13, v6, s4 dst_sel:DWORD dst_unused:UNUSED_PAD src0_sel:WORD_1 src1_sel:DWORD
	s_movk_i32 s4, 0x7f
	v_cmp_lt_i16_e32 vcc, s4, v13
	s_mov_b64 s[4:5], 0
                                        ; implicit-def: $sgpr10
	s_and_saveexec_b64 s[6:7], vcc
	s_xor_b64 s[6:7], exec, s[6:7]
	s_cbranch_execnz .LBB3_393
; %bb.137:
	s_or_saveexec_b64 s[6:7], s[6:7]
	v_mov_b32_e32 v12, s10
	s_xor_b64 exec, exec, s[6:7]
	s_cbranch_execnz .LBB3_396
.LBB3_138:
	s_or_b64 exec, exec, s[6:7]
	s_and_saveexec_b64 s[6:7], s[4:5]
	s_cbranch_execz .LBB3_140
.LBB3_139:
	v_mov_b32_e32 v12, 7
	v_and_b32_sdwa v13, v6, v12 dst_sel:DWORD dst_unused:UNUSED_PAD src0_sel:WORD_1 src1_sel:DWORD
	v_ffbh_u32_e32 v15, v13
	v_mov_b32_e32 v14, 3
	v_min_u32_e32 v15, 32, v15
	v_lshrrev_b16_sdwa v14, v14, v6 dst_sel:DWORD dst_unused:UNUSED_PAD src0_sel:DWORD src1_sel:WORD_1
	v_subrev_u32_e32 v16, 28, v15
	v_and_b32_e32 v14, 15, v14
	v_lshlrev_b32_e32 v16, v16, v13
	v_sub_u32_e32 v15, 29, v15
	v_and_b32_e32 v16, 7, v16
	v_cmp_eq_u16_e32 vcc, 0, v14
	v_lshrrev_b16_sdwa v12, v12, v6 dst_sel:DWORD dst_unused:UNUSED_PAD src0_sel:DWORD src1_sel:WORD_1
	v_cndmask_b32_e32 v13, v13, v16, vcc
	v_cndmask_b32_e32 v14, v14, v15, vcc
	v_mov_b32_e32 v15, 0x3b800000
	v_lshlrev_b32_e32 v13, 20, v13
	v_lshlrev_b32_e32 v12, 31, v12
	v_lshl_add_u32 v14, v14, 23, v15
	v_or3_b32 v12, v12, v14, v13
.LBB3_140:
	s_or_b64 exec, exec, s[6:7]
	v_mov_b32_e32 v13, 8
	v_lshrrev_b16_sdwa v14, v13, v6 dst_sel:DWORD dst_unused:UNUSED_PAD src0_sel:DWORD src1_sel:WORD_1
	s_movk_i32 s4, 0x7f
	v_cmp_lt_i16_e32 vcc, s4, v14
	s_mov_b64 s[4:5], 0
                                        ; implicit-def: $sgpr10
	s_and_saveexec_b64 s[6:7], vcc
	s_xor_b64 s[6:7], exec, s[6:7]
	s_cbranch_execnz .LBB3_397
; %bb.141:
	s_or_saveexec_b64 s[6:7], s[6:7]
	v_mov_b32_e32 v13, s10
	s_xor_b64 exec, exec, s[6:7]
	s_cbranch_execnz .LBB3_400
.LBB3_142:
	s_or_b64 exec, exec, s[6:7]
	s_and_saveexec_b64 s[6:7], s[4:5]
	s_cbranch_execz .LBB3_144
.LBB3_143:
	v_mov_b32_e32 v13, 8
	v_lshrrev_b16_sdwa v13, v13, v6 dst_sel:DWORD dst_unused:UNUSED_PAD src0_sel:DWORD src1_sel:WORD_1
	v_and_b32_e32 v13, 7, v13
	v_mov_b32_e32 v14, 15
	v_mov_b32_e32 v15, 11
	v_lshrrev_b16_sdwa v14, v14, v6 dst_sel:DWORD dst_unused:UNUSED_PAD src0_sel:DWORD src1_sel:WORD_1
	v_lshrrev_b16_sdwa v6, v15, v6 dst_sel:DWORD dst_unused:UNUSED_PAD src0_sel:DWORD src1_sel:WORD_1
	v_ffbh_u32_e32 v15, v13
	v_min_u32_e32 v15, 32, v15
	v_subrev_u32_e32 v16, 28, v15
	v_and_b32_e32 v6, 15, v6
	v_lshlrev_b32_e32 v16, v16, v13
	v_sub_u32_e32 v15, 29, v15
	v_and_b32_e32 v16, 7, v16
	v_cmp_eq_u16_e32 vcc, 0, v6
	v_cndmask_b32_e32 v13, v13, v16, vcc
	v_cndmask_b32_e32 v6, v6, v15, vcc
	v_mov_b32_e32 v15, 0x3b800000
	v_lshlrev_b32_e32 v13, 20, v13
	v_lshlrev_b32_e32 v14, 31, v14
	v_lshl_add_u32 v6, v6, 23, v15
	v_or3_b32 v13, v14, v6, v13
.LBB3_144:
	s_or_b64 exec, exec, s[6:7]
	s_movk_i32 s4, 0x7f
	v_cmp_gt_i16_sdwa s[6:7], v7, s4 src0_sel:BYTE_0 src1_sel:DWORD
	s_mov_b64 s[4:5], 0
                                        ; implicit-def: $sgpr10
	s_and_saveexec_b64 s[8:9], s[6:7]
	s_xor_b64 s[6:7], exec, s[8:9]
	s_cbranch_execnz .LBB3_401
; %bb.145:
	s_or_saveexec_b64 s[6:7], s[6:7]
	v_mov_b32_e32 v6, s10
	s_xor_b64 exec, exec, s[6:7]
	s_cbranch_execnz .LBB3_404
.LBB3_146:
	s_or_b64 exec, exec, s[6:7]
	s_and_saveexec_b64 s[6:7], s[4:5]
	s_cbranch_execz .LBB3_148
.LBB3_147:
	v_and_b32_e32 v6, 7, v7
	v_ffbh_u32_e32 v16, v6
	v_min_u32_e32 v16, 32, v16
	v_lshrrev_b16_e32 v15, 3, v7
	v_subrev_u32_e32 v17, 28, v16
	v_and_b32_e32 v15, 15, v15
	v_lshlrev_b32_e32 v17, v17, v6
	v_sub_u32_e32 v16, 29, v16
	v_and_b32_e32 v17, 7, v17
	v_cmp_eq_u16_e32 vcc, 0, v15
	v_lshrrev_b16_e32 v14, 7, v7
	v_cndmask_b32_e32 v6, v6, v17, vcc
	v_cndmask_b32_e32 v15, v15, v16, vcc
	v_mov_b32_e32 v16, 0x3b800000
	v_lshlrev_b32_e32 v6, 20, v6
	v_lshlrev_b32_e32 v14, 31, v14
	v_lshl_add_u32 v15, v15, 23, v16
	v_or3_b32 v6, v14, v15, v6
.LBB3_148:
	s_or_b64 exec, exec, s[6:7]
	s_movk_i32 s4, 0x7f
	v_cmp_gt_i16_sdwa s[6:7], v7, s4 src0_sel:BYTE_1 src1_sel:DWORD
	s_mov_b64 s[4:5], 0
                                        ; implicit-def: $sgpr10
	s_and_saveexec_b64 s[8:9], s[6:7]
	s_xor_b64 s[6:7], exec, s[8:9]
	s_cbranch_execnz .LBB3_405
; %bb.149:
	s_or_saveexec_b64 s[6:7], s[6:7]
	v_mov_b32_e32 v14, s10
	s_xor_b64 exec, exec, s[6:7]
	s_cbranch_execnz .LBB3_408
.LBB3_150:
	s_or_b64 exec, exec, s[6:7]
	s_and_saveexec_b64 s[6:7], s[4:5]
	s_cbranch_execz .LBB3_152
.LBB3_151:
	v_mov_b32_e32 v14, 7
	v_and_b32_sdwa v14, v7, v14 dst_sel:DWORD dst_unused:UNUSED_PAD src0_sel:BYTE_1 src1_sel:DWORD
	v_ffbh_u32_e32 v17, v14
	v_min_u32_e32 v17, 32, v17
	v_lshrrev_b16_e32 v16, 11, v7
	v_subrev_u32_e32 v18, 28, v17
	v_and_b32_e32 v16, 15, v16
	v_lshlrev_b32_e32 v18, v18, v14
	v_sub_u32_e32 v17, 29, v17
	v_and_b32_e32 v18, 7, v18
	v_cmp_eq_u16_e32 vcc, 0, v16
	v_lshrrev_b16_e32 v15, 15, v7
	v_cndmask_b32_e32 v14, v14, v18, vcc
	v_cndmask_b32_e32 v16, v16, v17, vcc
	v_mov_b32_e32 v17, 0x3b800000
	v_lshlrev_b32_e32 v14, 20, v14
	v_lshlrev_b32_e32 v15, 31, v15
	v_lshl_add_u32 v16, v16, 23, v17
	v_or3_b32 v14, v15, v16, v14
.LBB3_152:
	s_or_b64 exec, exec, s[6:7]
	s_movk_i32 s4, 0xff
	v_and_b32_sdwa v16, v7, s4 dst_sel:DWORD dst_unused:UNUSED_PAD src0_sel:WORD_1 src1_sel:DWORD
	s_movk_i32 s4, 0x7f
	v_cmp_lt_i16_e32 vcc, s4, v16
	s_mov_b64 s[4:5], 0
                                        ; implicit-def: $sgpr10
	s_and_saveexec_b64 s[6:7], vcc
	s_xor_b64 s[6:7], exec, s[6:7]
	s_cbranch_execnz .LBB3_409
; %bb.153:
	s_or_saveexec_b64 s[6:7], s[6:7]
	v_mov_b32_e32 v15, s10
	s_xor_b64 exec, exec, s[6:7]
	s_cbranch_execnz .LBB3_412
.LBB3_154:
	s_or_b64 exec, exec, s[6:7]
	s_and_saveexec_b64 s[6:7], s[4:5]
	s_cbranch_execz .LBB3_156
.LBB3_155:
	v_mov_b32_e32 v15, 7
	v_and_b32_sdwa v16, v7, v15 dst_sel:DWORD dst_unused:UNUSED_PAD src0_sel:WORD_1 src1_sel:DWORD
	v_ffbh_u32_e32 v18, v16
	v_mov_b32_e32 v17, 3
	v_min_u32_e32 v18, 32, v18
	v_lshrrev_b16_sdwa v17, v17, v7 dst_sel:DWORD dst_unused:UNUSED_PAD src0_sel:DWORD src1_sel:WORD_1
	v_subrev_u32_e32 v19, 28, v18
	v_and_b32_e32 v17, 15, v17
	v_lshlrev_b32_e32 v19, v19, v16
	v_sub_u32_e32 v18, 29, v18
	v_and_b32_e32 v19, 7, v19
	v_cmp_eq_u16_e32 vcc, 0, v17
	v_lshrrev_b16_sdwa v15, v15, v7 dst_sel:DWORD dst_unused:UNUSED_PAD src0_sel:DWORD src1_sel:WORD_1
	v_cndmask_b32_e32 v16, v16, v19, vcc
	v_cndmask_b32_e32 v17, v17, v18, vcc
	v_mov_b32_e32 v18, 0x3b800000
	v_lshlrev_b32_e32 v16, 20, v16
	v_lshlrev_b32_e32 v15, 31, v15
	v_lshl_add_u32 v17, v17, 23, v18
	v_or3_b32 v15, v15, v17, v16
.LBB3_156:
	s_or_b64 exec, exec, s[6:7]
	v_mov_b32_e32 v16, 8
	v_lshrrev_b16_sdwa v17, v16, v7 dst_sel:DWORD dst_unused:UNUSED_PAD src0_sel:DWORD src1_sel:WORD_1
	s_movk_i32 s4, 0x7f
	v_cmp_lt_i16_e32 vcc, s4, v17
	s_mov_b64 s[4:5], 0
                                        ; implicit-def: $sgpr10
	s_and_saveexec_b64 s[6:7], vcc
	s_xor_b64 s[6:7], exec, s[6:7]
	s_cbranch_execnz .LBB3_413
; %bb.157:
	s_or_saveexec_b64 s[6:7], s[6:7]
	v_mov_b32_e32 v16, s10
	s_xor_b64 exec, exec, s[6:7]
	s_cbranch_execnz .LBB3_416
.LBB3_158:
	s_or_b64 exec, exec, s[6:7]
	s_and_saveexec_b64 s[6:7], s[4:5]
	s_cbranch_execz .LBB3_160
.LBB3_159:
	v_mov_b32_e32 v16, 8
	v_lshrrev_b16_sdwa v16, v16, v7 dst_sel:DWORD dst_unused:UNUSED_PAD src0_sel:DWORD src1_sel:WORD_1
	v_and_b32_e32 v16, 7, v16
	v_mov_b32_e32 v17, 15
	v_mov_b32_e32 v18, 11
	v_lshrrev_b16_sdwa v17, v17, v7 dst_sel:DWORD dst_unused:UNUSED_PAD src0_sel:DWORD src1_sel:WORD_1
	v_lshrrev_b16_sdwa v7, v18, v7 dst_sel:DWORD dst_unused:UNUSED_PAD src0_sel:DWORD src1_sel:WORD_1
	v_ffbh_u32_e32 v18, v16
	v_min_u32_e32 v18, 32, v18
	v_subrev_u32_e32 v19, 28, v18
	v_and_b32_e32 v7, 15, v7
	v_lshlrev_b32_e32 v19, v19, v16
	v_sub_u32_e32 v18, 29, v18
	v_and_b32_e32 v19, 7, v19
	v_cmp_eq_u16_e32 vcc, 0, v7
	v_cndmask_b32_e32 v16, v16, v19, vcc
	v_cndmask_b32_e32 v7, v7, v18, vcc
	v_mov_b32_e32 v18, 0x3b800000
	v_lshlrev_b32_e32 v16, 20, v16
	v_lshlrev_b32_e32 v17, 31, v17
	v_lshl_add_u32 v7, v7, 23, v18
	v_or3_b32 v16, v17, v7, v16
.LBB3_160:
	s_or_b64 exec, exec, s[6:7]
	s_movk_i32 s4, 0x7f
	v_cmp_gt_i16_sdwa s[6:7], v8, s4 src0_sel:BYTE_0 src1_sel:DWORD
	s_mov_b64 s[4:5], 0
                                        ; implicit-def: $sgpr10
	s_and_saveexec_b64 s[8:9], s[6:7]
	s_xor_b64 s[6:7], exec, s[8:9]
	s_cbranch_execnz .LBB3_417
; %bb.161:
	s_or_saveexec_b64 s[6:7], s[6:7]
	v_mov_b32_e32 v7, s10
	s_xor_b64 exec, exec, s[6:7]
	s_cbranch_execnz .LBB3_420
.LBB3_162:
	s_or_b64 exec, exec, s[6:7]
	s_and_saveexec_b64 s[6:7], s[4:5]
	s_cbranch_execz .LBB3_164
.LBB3_163:
	v_and_b32_e32 v7, 7, v8
	v_ffbh_u32_e32 v19, v7
	v_min_u32_e32 v19, 32, v19
	v_lshrrev_b16_e32 v18, 3, v8
	v_subrev_u32_e32 v20, 28, v19
	v_and_b32_e32 v18, 15, v18
	v_lshlrev_b32_e32 v20, v20, v7
	v_sub_u32_e32 v19, 29, v19
	v_and_b32_e32 v20, 7, v20
	v_cmp_eq_u16_e32 vcc, 0, v18
	v_lshrrev_b16_e32 v17, 7, v8
	v_cndmask_b32_e32 v7, v7, v20, vcc
	v_cndmask_b32_e32 v18, v18, v19, vcc
	v_mov_b32_e32 v19, 0x3b800000
	v_lshlrev_b32_e32 v7, 20, v7
	v_lshlrev_b32_e32 v17, 31, v17
	v_lshl_add_u32 v18, v18, 23, v19
	v_or3_b32 v7, v17, v18, v7
.LBB3_164:
	s_or_b64 exec, exec, s[6:7]
	s_movk_i32 s4, 0x7f
	v_cmp_gt_i16_sdwa s[6:7], v8, s4 src0_sel:BYTE_1 src1_sel:DWORD
	s_mov_b64 s[4:5], 0
                                        ; implicit-def: $sgpr10
	s_and_saveexec_b64 s[8:9], s[6:7]
	s_xor_b64 s[6:7], exec, s[8:9]
	s_cbranch_execnz .LBB3_421
; %bb.165:
	s_or_saveexec_b64 s[6:7], s[6:7]
	v_mov_b32_e32 v17, s10
	s_xor_b64 exec, exec, s[6:7]
	s_cbranch_execnz .LBB3_424
.LBB3_166:
	s_or_b64 exec, exec, s[6:7]
	s_and_saveexec_b64 s[6:7], s[4:5]
	s_cbranch_execz .LBB3_168
.LBB3_167:
	v_mov_b32_e32 v17, 7
	v_and_b32_sdwa v17, v8, v17 dst_sel:DWORD dst_unused:UNUSED_PAD src0_sel:BYTE_1 src1_sel:DWORD
	v_ffbh_u32_e32 v20, v17
	v_min_u32_e32 v20, 32, v20
	v_lshrrev_b16_e32 v19, 11, v8
	v_subrev_u32_e32 v21, 28, v20
	v_and_b32_e32 v19, 15, v19
	v_lshlrev_b32_e32 v21, v21, v17
	v_sub_u32_e32 v20, 29, v20
	v_and_b32_e32 v21, 7, v21
	v_cmp_eq_u16_e32 vcc, 0, v19
	v_lshrrev_b16_e32 v18, 15, v8
	v_cndmask_b32_e32 v17, v17, v21, vcc
	v_cndmask_b32_e32 v19, v19, v20, vcc
	v_mov_b32_e32 v20, 0x3b800000
	v_lshlrev_b32_e32 v17, 20, v17
	v_lshlrev_b32_e32 v18, 31, v18
	v_lshl_add_u32 v19, v19, 23, v20
	v_or3_b32 v17, v18, v19, v17
.LBB3_168:
	s_or_b64 exec, exec, s[6:7]
	s_movk_i32 s4, 0xff
	v_and_b32_sdwa v19, v8, s4 dst_sel:DWORD dst_unused:UNUSED_PAD src0_sel:WORD_1 src1_sel:DWORD
	s_movk_i32 s4, 0x7f
	v_cmp_lt_i16_e32 vcc, s4, v19
	s_mov_b64 s[4:5], 0
                                        ; implicit-def: $sgpr10
	s_and_saveexec_b64 s[6:7], vcc
	s_xor_b64 s[6:7], exec, s[6:7]
	s_cbranch_execnz .LBB3_425
; %bb.169:
	s_or_saveexec_b64 s[6:7], s[6:7]
	v_mov_b32_e32 v18, s10
	s_xor_b64 exec, exec, s[6:7]
	s_cbranch_execnz .LBB3_428
.LBB3_170:
	s_or_b64 exec, exec, s[6:7]
	s_and_saveexec_b64 s[6:7], s[4:5]
	s_cbranch_execz .LBB3_172
.LBB3_171:
	v_mov_b32_e32 v18, 7
	v_and_b32_sdwa v19, v8, v18 dst_sel:DWORD dst_unused:UNUSED_PAD src0_sel:WORD_1 src1_sel:DWORD
	v_ffbh_u32_e32 v21, v19
	v_mov_b32_e32 v20, 3
	v_min_u32_e32 v21, 32, v21
	v_lshrrev_b16_sdwa v20, v20, v8 dst_sel:DWORD dst_unused:UNUSED_PAD src0_sel:DWORD src1_sel:WORD_1
	v_subrev_u32_e32 v22, 28, v21
	v_and_b32_e32 v20, 15, v20
	v_lshlrev_b32_e32 v22, v22, v19
	v_sub_u32_e32 v21, 29, v21
	v_and_b32_e32 v22, 7, v22
	v_cmp_eq_u16_e32 vcc, 0, v20
	v_lshrrev_b16_sdwa v18, v18, v8 dst_sel:DWORD dst_unused:UNUSED_PAD src0_sel:DWORD src1_sel:WORD_1
	v_cndmask_b32_e32 v19, v19, v22, vcc
	v_cndmask_b32_e32 v20, v20, v21, vcc
	v_mov_b32_e32 v21, 0x3b800000
	v_lshlrev_b32_e32 v19, 20, v19
	v_lshlrev_b32_e32 v18, 31, v18
	v_lshl_add_u32 v20, v20, 23, v21
	v_or3_b32 v18, v18, v20, v19
.LBB3_172:
	s_or_b64 exec, exec, s[6:7]
	v_mov_b32_e32 v19, 8
	v_lshrrev_b16_sdwa v20, v19, v8 dst_sel:DWORD dst_unused:UNUSED_PAD src0_sel:DWORD src1_sel:WORD_1
	s_movk_i32 s4, 0x7f
	v_cmp_lt_i16_e32 vcc, s4, v20
	s_mov_b64 s[4:5], 0
                                        ; implicit-def: $sgpr10
	s_and_saveexec_b64 s[6:7], vcc
	s_xor_b64 s[6:7], exec, s[6:7]
	s_cbranch_execnz .LBB3_429
; %bb.173:
	s_or_saveexec_b64 s[6:7], s[6:7]
	v_mov_b32_e32 v19, s10
	s_xor_b64 exec, exec, s[6:7]
	s_cbranch_execnz .LBB3_432
.LBB3_174:
	s_or_b64 exec, exec, s[6:7]
	s_and_saveexec_b64 s[6:7], s[4:5]
	s_cbranch_execz .LBB3_176
.LBB3_175:
	v_mov_b32_e32 v19, 8
	v_lshrrev_b16_sdwa v19, v19, v8 dst_sel:DWORD dst_unused:UNUSED_PAD src0_sel:DWORD src1_sel:WORD_1
	v_and_b32_e32 v19, 7, v19
	v_mov_b32_e32 v20, 15
	v_mov_b32_e32 v21, 11
	v_lshrrev_b16_sdwa v20, v20, v8 dst_sel:DWORD dst_unused:UNUSED_PAD src0_sel:DWORD src1_sel:WORD_1
	v_lshrrev_b16_sdwa v8, v21, v8 dst_sel:DWORD dst_unused:UNUSED_PAD src0_sel:DWORD src1_sel:WORD_1
	v_ffbh_u32_e32 v21, v19
	v_min_u32_e32 v21, 32, v21
	v_subrev_u32_e32 v22, 28, v21
	v_and_b32_e32 v8, 15, v8
	v_lshlrev_b32_e32 v22, v22, v19
	v_sub_u32_e32 v21, 29, v21
	v_and_b32_e32 v22, 7, v22
	v_cmp_eq_u16_e32 vcc, 0, v8
	v_cndmask_b32_e32 v19, v19, v22, vcc
	v_cndmask_b32_e32 v8, v8, v21, vcc
	v_mov_b32_e32 v21, 0x3b800000
	v_lshlrev_b32_e32 v19, 20, v19
	v_lshlrev_b32_e32 v20, 31, v20
	v_lshl_add_u32 v8, v8, 23, v21
	v_or3_b32 v19, v20, v8, v19
.LBB3_176:
	s_or_b64 exec, exec, s[6:7]
	s_movk_i32 s4, 0x7f
	v_cmp_gt_i16_sdwa s[6:7], v9, s4 src0_sel:BYTE_0 src1_sel:DWORD
	s_mov_b64 s[4:5], 0
                                        ; implicit-def: $sgpr10
	s_and_saveexec_b64 s[8:9], s[6:7]
	s_xor_b64 s[6:7], exec, s[8:9]
	s_cbranch_execnz .LBB3_433
; %bb.177:
	s_or_saveexec_b64 s[6:7], s[6:7]
	v_mov_b32_e32 v8, s10
	s_xor_b64 exec, exec, s[6:7]
	s_cbranch_execnz .LBB3_436
.LBB3_178:
	s_or_b64 exec, exec, s[6:7]
	s_and_saveexec_b64 s[6:7], s[4:5]
	s_cbranch_execz .LBB3_180
.LBB3_179:
	v_and_b32_e32 v8, 7, v9
	v_ffbh_u32_e32 v22, v8
	v_min_u32_e32 v22, 32, v22
	v_lshrrev_b16_e32 v21, 3, v9
	v_subrev_u32_e32 v23, 28, v22
	v_and_b32_e32 v21, 15, v21
	v_lshlrev_b32_e32 v23, v23, v8
	v_sub_u32_e32 v22, 29, v22
	v_and_b32_e32 v23, 7, v23
	v_cmp_eq_u16_e32 vcc, 0, v21
	v_lshrrev_b16_e32 v20, 7, v9
	v_cndmask_b32_e32 v8, v8, v23, vcc
	v_cndmask_b32_e32 v21, v21, v22, vcc
	v_mov_b32_e32 v22, 0x3b800000
	v_lshlrev_b32_e32 v8, 20, v8
	v_lshlrev_b32_e32 v20, 31, v20
	v_lshl_add_u32 v21, v21, 23, v22
	v_or3_b32 v8, v20, v21, v8
.LBB3_180:
	s_or_b64 exec, exec, s[6:7]
	s_movk_i32 s4, 0x7f
	v_cmp_gt_i16_sdwa s[6:7], v9, s4 src0_sel:BYTE_1 src1_sel:DWORD
	s_mov_b64 s[4:5], 0
                                        ; implicit-def: $sgpr10
	s_and_saveexec_b64 s[8:9], s[6:7]
	s_xor_b64 s[6:7], exec, s[8:9]
	s_cbranch_execnz .LBB3_437
; %bb.181:
	s_or_saveexec_b64 s[6:7], s[6:7]
	v_mov_b32_e32 v20, s10
	s_xor_b64 exec, exec, s[6:7]
	s_cbranch_execnz .LBB3_440
.LBB3_182:
	s_or_b64 exec, exec, s[6:7]
	s_and_saveexec_b64 s[6:7], s[4:5]
	s_cbranch_execz .LBB3_184
.LBB3_183:
	v_mov_b32_e32 v20, 7
	v_and_b32_sdwa v20, v9, v20 dst_sel:DWORD dst_unused:UNUSED_PAD src0_sel:BYTE_1 src1_sel:DWORD
	v_ffbh_u32_e32 v23, v20
	v_min_u32_e32 v23, 32, v23
	v_lshrrev_b16_e32 v22, 11, v9
	v_subrev_u32_e32 v24, 28, v23
	v_and_b32_e32 v22, 15, v22
	v_lshlrev_b32_e32 v24, v24, v20
	v_sub_u32_e32 v23, 29, v23
	v_and_b32_e32 v24, 7, v24
	v_cmp_eq_u16_e32 vcc, 0, v22
	v_lshrrev_b16_e32 v21, 15, v9
	v_cndmask_b32_e32 v20, v20, v24, vcc
	v_cndmask_b32_e32 v22, v22, v23, vcc
	v_mov_b32_e32 v23, 0x3b800000
	v_lshlrev_b32_e32 v20, 20, v20
	v_lshlrev_b32_e32 v21, 31, v21
	v_lshl_add_u32 v22, v22, 23, v23
	v_or3_b32 v20, v21, v22, v20
.LBB3_184:
	s_or_b64 exec, exec, s[6:7]
	s_movk_i32 s4, 0xff
	v_and_b32_sdwa v22, v9, s4 dst_sel:DWORD dst_unused:UNUSED_PAD src0_sel:WORD_1 src1_sel:DWORD
	s_movk_i32 s4, 0x7f
	v_cmp_lt_i16_e32 vcc, s4, v22
	s_mov_b64 s[4:5], 0
                                        ; implicit-def: $sgpr10
	s_and_saveexec_b64 s[6:7], vcc
	s_xor_b64 s[6:7], exec, s[6:7]
	s_cbranch_execnz .LBB3_441
; %bb.185:
	s_or_saveexec_b64 s[6:7], s[6:7]
	v_mov_b32_e32 v21, s10
	s_xor_b64 exec, exec, s[6:7]
	s_cbranch_execnz .LBB3_444
.LBB3_186:
	s_or_b64 exec, exec, s[6:7]
	s_and_saveexec_b64 s[6:7], s[4:5]
	s_cbranch_execz .LBB3_188
.LBB3_187:
	v_mov_b32_e32 v21, 7
	v_and_b32_sdwa v22, v9, v21 dst_sel:DWORD dst_unused:UNUSED_PAD src0_sel:WORD_1 src1_sel:DWORD
	v_ffbh_u32_e32 v24, v22
	v_mov_b32_e32 v23, 3
	v_min_u32_e32 v24, 32, v24
	v_lshrrev_b16_sdwa v23, v23, v9 dst_sel:DWORD dst_unused:UNUSED_PAD src0_sel:DWORD src1_sel:WORD_1
	v_subrev_u32_e32 v25, 28, v24
	v_and_b32_e32 v23, 15, v23
	v_lshlrev_b32_e32 v25, v25, v22
	v_sub_u32_e32 v24, 29, v24
	v_and_b32_e32 v25, 7, v25
	v_cmp_eq_u16_e32 vcc, 0, v23
	v_lshrrev_b16_sdwa v21, v21, v9 dst_sel:DWORD dst_unused:UNUSED_PAD src0_sel:DWORD src1_sel:WORD_1
	v_cndmask_b32_e32 v22, v22, v25, vcc
	v_cndmask_b32_e32 v23, v23, v24, vcc
	v_mov_b32_e32 v24, 0x3b800000
	v_lshlrev_b32_e32 v22, 20, v22
	v_lshlrev_b32_e32 v21, 31, v21
	v_lshl_add_u32 v23, v23, 23, v24
	v_or3_b32 v21, v21, v23, v22
.LBB3_188:
	s_or_b64 exec, exec, s[6:7]
	v_mov_b32_e32 v22, 8
	v_lshrrev_b16_sdwa v23, v22, v9 dst_sel:DWORD dst_unused:UNUSED_PAD src0_sel:DWORD src1_sel:WORD_1
	s_movk_i32 s4, 0x7f
	v_cmp_lt_i16_e32 vcc, s4, v23
	s_mov_b64 s[4:5], 0
                                        ; implicit-def: $sgpr10
	s_and_saveexec_b64 s[6:7], vcc
	s_xor_b64 s[6:7], exec, s[6:7]
	s_cbranch_execnz .LBB3_445
; %bb.189:
	s_or_saveexec_b64 s[6:7], s[6:7]
	v_mov_b32_e32 v22, s10
	s_xor_b64 exec, exec, s[6:7]
	s_cbranch_execnz .LBB3_448
.LBB3_190:
	s_or_b64 exec, exec, s[6:7]
	s_and_saveexec_b64 s[6:7], s[4:5]
	s_cbranch_execz .LBB3_192
.LBB3_191:
	v_mov_b32_e32 v22, 8
	v_lshrrev_b16_sdwa v22, v22, v9 dst_sel:DWORD dst_unused:UNUSED_PAD src0_sel:DWORD src1_sel:WORD_1
	v_and_b32_e32 v22, 7, v22
	v_mov_b32_e32 v23, 15
	v_mov_b32_e32 v24, 11
	v_lshrrev_b16_sdwa v23, v23, v9 dst_sel:DWORD dst_unused:UNUSED_PAD src0_sel:DWORD src1_sel:WORD_1
	v_lshrrev_b16_sdwa v9, v24, v9 dst_sel:DWORD dst_unused:UNUSED_PAD src0_sel:DWORD src1_sel:WORD_1
	v_ffbh_u32_e32 v24, v22
	v_min_u32_e32 v24, 32, v24
	v_subrev_u32_e32 v25, 28, v24
	v_and_b32_e32 v9, 15, v9
	v_lshlrev_b32_e32 v25, v25, v22
	v_sub_u32_e32 v24, 29, v24
	v_and_b32_e32 v25, 7, v25
	v_cmp_eq_u16_e32 vcc, 0, v9
	v_cndmask_b32_e32 v22, v22, v25, vcc
	v_cndmask_b32_e32 v9, v9, v24, vcc
	v_mov_b32_e32 v24, 0x3b800000
	v_lshlrev_b32_e32 v22, 20, v22
	v_lshlrev_b32_e32 v23, 31, v23
	v_lshl_add_u32 v9, v9, 23, v24
	v_or3_b32 v22, v23, v9, v22
.LBB3_192:
	s_or_b64 exec, exec, s[6:7]
	v_cvt_pkrtz_f16_f32 v24, v2, v3
	v_cvt_pkrtz_f16_f32 v25, v12, v13
	;; [unrolled: 1-line block ×8, first 2 shown]
	flat_store_dwordx4 v[4:5], v[24:27] offset:192
	flat_store_dwordx4 v[4:5], v[6:9] offset:208
	flat_load_dwordx2 v[2:3], v[0:1] offset:32
	s_nop 0
	flat_load_dwordx4 v[6:9], v[0:1] offset:44
	flat_load_dwordx2 v[16:17], v[0:1] offset:16
	flat_load_dwordx3 v[12:14], v[0:1]
	s_movk_i32 s4, 0x7f
                                        ; implicit-def: $sgpr10
	s_waitcnt vmcnt(0) lgkmcnt(0)
	v_add_u32_e32 v0, 48, v9
	v_sub_u32_e32 v1, v16, v3
	v_add_u32_e32 v2, v2, v6
	v_ashrrev_i32_e32 v6, 31, v0
	v_add3_u32 v1, v1, v7, 16
	v_lshrrev_b32_e32 v6, 28, v6
	v_ashrrev_i32_e32 v7, 31, v1
	v_sub_u32_e32 v3, v12, v8
	v_sub_u32_e32 v8, v1, v14
	v_add_u32_e32 v6, v0, v6
	v_lshrrev_b32_e32 v7, 28, v7
	v_lshl_add_u32 v3, v8, 8, v3
	v_lshrrev_b32_e32 v8, 4, v6
	v_and_b32_e32 v6, -16, v6
	v_add_u32_e32 v7, v1, v7
	v_sub_u32_e32 v2, v17, v2
	v_sub_u32_e32 v0, v0, v6
	v_and_b32_e32 v6, 0xffffff0, v7
	v_add_u32_e32 v2, v2, v8
	v_sub_u32_e32 v1, v1, v6
	v_xor_b32_e32 v1, v2, v1
	v_sub_u32_e32 v1, v1, v13
	v_lshlrev_b32_e32 v1, 4, v1
	v_add3_u32 v0, v3, v0, v1
	v_ashrrev_i32_e32 v1, 31, v0
	v_add_co_u32_e32 v0, vcc, v10, v0
	v_addc_co_u32_e32 v1, vcc, v11, v1, vcc
	flat_load_dwordx4 v[0:3], v[0:1]
	s_waitcnt vmcnt(0) lgkmcnt(0)
	v_cmp_gt_i16_sdwa s[6:7], v0, s4 src0_sel:BYTE_0 src1_sel:DWORD
	s_mov_b64 s[4:5], 0
	s_and_saveexec_b64 s[8:9], s[6:7]
	s_xor_b64 s[6:7], exec, s[8:9]
	s_cbranch_execnz .LBB3_449
; %bb.193:
	s_or_saveexec_b64 s[6:7], s[6:7]
	v_mov_b32_e32 v6, s10
	s_xor_b64 exec, exec, s[6:7]
	s_cbranch_execnz .LBB3_452
.LBB3_194:
	s_or_b64 exec, exec, s[6:7]
	s_and_saveexec_b64 s[6:7], s[4:5]
	s_cbranch_execz .LBB3_196
.LBB3_195:
	v_and_b32_e32 v6, 7, v0
	v_ffbh_u32_e32 v9, v6
	v_min_u32_e32 v9, 32, v9
	v_lshrrev_b16_e32 v8, 3, v0
	v_subrev_u32_e32 v10, 28, v9
	v_and_b32_e32 v8, 15, v8
	v_lshlrev_b32_e32 v10, v10, v6
	v_sub_u32_e32 v9, 29, v9
	v_and_b32_e32 v10, 7, v10
	v_cmp_eq_u16_e32 vcc, 0, v8
	v_lshrrev_b16_e32 v7, 7, v0
	v_cndmask_b32_e32 v6, v6, v10, vcc
	v_cndmask_b32_e32 v8, v8, v9, vcc
	v_mov_b32_e32 v9, 0x3b800000
	v_lshlrev_b32_e32 v6, 20, v6
	v_lshlrev_b32_e32 v7, 31, v7
	v_lshl_add_u32 v8, v8, 23, v9
	v_or3_b32 v6, v7, v8, v6
.LBB3_196:
	s_or_b64 exec, exec, s[6:7]
	s_movk_i32 s4, 0x7f
	v_cmp_gt_i16_sdwa s[6:7], v0, s4 src0_sel:BYTE_1 src1_sel:DWORD
	s_mov_b64 s[4:5], 0
                                        ; implicit-def: $sgpr10
	s_and_saveexec_b64 s[8:9], s[6:7]
	s_xor_b64 s[6:7], exec, s[8:9]
	s_cbranch_execnz .LBB3_453
; %bb.197:
	s_or_saveexec_b64 s[6:7], s[6:7]
	v_mov_b32_e32 v7, s10
	s_xor_b64 exec, exec, s[6:7]
	s_cbranch_execnz .LBB3_456
.LBB3_198:
	s_or_b64 exec, exec, s[6:7]
	s_and_saveexec_b64 s[6:7], s[4:5]
	s_cbranch_execz .LBB3_200
.LBB3_199:
	v_mov_b32_e32 v7, 7
	v_and_b32_sdwa v7, v0, v7 dst_sel:DWORD dst_unused:UNUSED_PAD src0_sel:BYTE_1 src1_sel:DWORD
	v_ffbh_u32_e32 v10, v7
	v_min_u32_e32 v10, 32, v10
	v_lshrrev_b16_e32 v9, 11, v0
	v_subrev_u32_e32 v11, 28, v10
	v_and_b32_e32 v9, 15, v9
	v_lshlrev_b32_e32 v11, v11, v7
	v_sub_u32_e32 v10, 29, v10
	v_and_b32_e32 v11, 7, v11
	v_cmp_eq_u16_e32 vcc, 0, v9
	v_lshrrev_b16_e32 v8, 15, v0
	v_cndmask_b32_e32 v7, v7, v11, vcc
	v_cndmask_b32_e32 v9, v9, v10, vcc
	v_mov_b32_e32 v10, 0x3b800000
	v_lshlrev_b32_e32 v7, 20, v7
	v_lshlrev_b32_e32 v8, 31, v8
	v_lshl_add_u32 v9, v9, 23, v10
	v_or3_b32 v7, v8, v9, v7
.LBB3_200:
	s_or_b64 exec, exec, s[6:7]
	s_movk_i32 s4, 0xff
	v_and_b32_sdwa v9, v0, s4 dst_sel:DWORD dst_unused:UNUSED_PAD src0_sel:WORD_1 src1_sel:DWORD
	s_movk_i32 s4, 0x7f
	v_cmp_lt_i16_e32 vcc, s4, v9
	s_mov_b64 s[4:5], 0
                                        ; implicit-def: $sgpr10
	s_and_saveexec_b64 s[6:7], vcc
	s_xor_b64 s[6:7], exec, s[6:7]
	s_cbranch_execnz .LBB3_457
; %bb.201:
	s_or_saveexec_b64 s[6:7], s[6:7]
	v_mov_b32_e32 v8, s10
	s_xor_b64 exec, exec, s[6:7]
	s_cbranch_execnz .LBB3_460
.LBB3_202:
	s_or_b64 exec, exec, s[6:7]
	s_and_saveexec_b64 s[6:7], s[4:5]
	s_cbranch_execz .LBB3_204
.LBB3_203:
	v_mov_b32_e32 v8, 7
	v_and_b32_sdwa v9, v0, v8 dst_sel:DWORD dst_unused:UNUSED_PAD src0_sel:WORD_1 src1_sel:DWORD
	v_ffbh_u32_e32 v11, v9
	v_mov_b32_e32 v10, 3
	v_min_u32_e32 v11, 32, v11
	v_lshrrev_b16_sdwa v10, v10, v0 dst_sel:DWORD dst_unused:UNUSED_PAD src0_sel:DWORD src1_sel:WORD_1
	v_subrev_u32_e32 v12, 28, v11
	v_and_b32_e32 v10, 15, v10
	v_lshlrev_b32_e32 v12, v12, v9
	v_sub_u32_e32 v11, 29, v11
	v_and_b32_e32 v12, 7, v12
	v_cmp_eq_u16_e32 vcc, 0, v10
	v_lshrrev_b16_sdwa v8, v8, v0 dst_sel:DWORD dst_unused:UNUSED_PAD src0_sel:DWORD src1_sel:WORD_1
	v_cndmask_b32_e32 v9, v9, v12, vcc
	v_cndmask_b32_e32 v10, v10, v11, vcc
	v_mov_b32_e32 v11, 0x3b800000
	v_lshlrev_b32_e32 v9, 20, v9
	v_lshlrev_b32_e32 v8, 31, v8
	v_lshl_add_u32 v10, v10, 23, v11
	v_or3_b32 v8, v8, v10, v9
.LBB3_204:
	s_or_b64 exec, exec, s[6:7]
	v_mov_b32_e32 v9, 8
	v_lshrrev_b16_sdwa v10, v9, v0 dst_sel:DWORD dst_unused:UNUSED_PAD src0_sel:DWORD src1_sel:WORD_1
	s_movk_i32 s4, 0x7f
	v_cmp_lt_i16_e32 vcc, s4, v10
	s_mov_b64 s[4:5], 0
                                        ; implicit-def: $sgpr10
	s_and_saveexec_b64 s[6:7], vcc
	s_xor_b64 s[6:7], exec, s[6:7]
	s_cbranch_execnz .LBB3_461
; %bb.205:
	s_or_saveexec_b64 s[6:7], s[6:7]
	v_mov_b32_e32 v9, s10
	s_xor_b64 exec, exec, s[6:7]
	s_cbranch_execnz .LBB3_464
.LBB3_206:
	s_or_b64 exec, exec, s[6:7]
	s_and_saveexec_b64 s[6:7], s[4:5]
	s_cbranch_execz .LBB3_208
.LBB3_207:
	v_mov_b32_e32 v9, 8
	v_lshrrev_b16_sdwa v9, v9, v0 dst_sel:DWORD dst_unused:UNUSED_PAD src0_sel:DWORD src1_sel:WORD_1
	v_and_b32_e32 v9, 7, v9
	v_mov_b32_e32 v10, 15
	v_mov_b32_e32 v11, 11
	v_lshrrev_b16_sdwa v10, v10, v0 dst_sel:DWORD dst_unused:UNUSED_PAD src0_sel:DWORD src1_sel:WORD_1
	v_lshrrev_b16_sdwa v0, v11, v0 dst_sel:DWORD dst_unused:UNUSED_PAD src0_sel:DWORD src1_sel:WORD_1
	v_ffbh_u32_e32 v11, v9
	v_min_u32_e32 v11, 32, v11
	v_subrev_u32_e32 v12, 28, v11
	v_and_b32_e32 v0, 15, v0
	v_lshlrev_b32_e32 v12, v12, v9
	v_sub_u32_e32 v11, 29, v11
	v_and_b32_e32 v12, 7, v12
	v_cmp_eq_u16_e32 vcc, 0, v0
	v_cndmask_b32_e32 v9, v9, v12, vcc
	v_cndmask_b32_e32 v0, v0, v11, vcc
	v_mov_b32_e32 v11, 0x3b800000
	v_lshlrev_b32_e32 v9, 20, v9
	v_lshlrev_b32_e32 v10, 31, v10
	v_lshl_add_u32 v0, v0, 23, v11
	v_or3_b32 v9, v10, v0, v9
.LBB3_208:
	s_or_b64 exec, exec, s[6:7]
	s_movk_i32 s4, 0x7f
	v_cmp_gt_i16_sdwa s[6:7], v1, s4 src0_sel:BYTE_0 src1_sel:DWORD
	s_mov_b64 s[4:5], 0
                                        ; implicit-def: $sgpr10
	s_and_saveexec_b64 s[8:9], s[6:7]
	s_xor_b64 s[6:7], exec, s[8:9]
	s_cbranch_execnz .LBB3_465
; %bb.209:
	s_or_saveexec_b64 s[6:7], s[6:7]
	v_mov_b32_e32 v0, s10
	s_xor_b64 exec, exec, s[6:7]
	s_cbranch_execnz .LBB3_468
.LBB3_210:
	s_or_b64 exec, exec, s[6:7]
	s_and_saveexec_b64 s[6:7], s[4:5]
	s_cbranch_execz .LBB3_212
.LBB3_211:
	v_and_b32_e32 v0, 7, v1
	v_ffbh_u32_e32 v12, v0
	v_min_u32_e32 v12, 32, v12
	v_lshrrev_b16_e32 v11, 3, v1
	v_subrev_u32_e32 v13, 28, v12
	v_and_b32_e32 v11, 15, v11
	v_lshlrev_b32_e32 v13, v13, v0
	v_sub_u32_e32 v12, 29, v12
	v_and_b32_e32 v13, 7, v13
	v_cmp_eq_u16_e32 vcc, 0, v11
	v_lshrrev_b16_e32 v10, 7, v1
	v_cndmask_b32_e32 v0, v0, v13, vcc
	v_cndmask_b32_e32 v11, v11, v12, vcc
	v_mov_b32_e32 v12, 0x3b800000
	v_lshlrev_b32_e32 v0, 20, v0
	v_lshlrev_b32_e32 v10, 31, v10
	v_lshl_add_u32 v11, v11, 23, v12
	v_or3_b32 v0, v10, v11, v0
.LBB3_212:
	s_or_b64 exec, exec, s[6:7]
	s_movk_i32 s4, 0x7f
	v_cmp_gt_i16_sdwa s[6:7], v1, s4 src0_sel:BYTE_1 src1_sel:DWORD
	s_mov_b64 s[4:5], 0
                                        ; implicit-def: $sgpr10
	s_and_saveexec_b64 s[8:9], s[6:7]
	s_xor_b64 s[6:7], exec, s[8:9]
	s_cbranch_execnz .LBB3_469
; %bb.213:
	s_or_saveexec_b64 s[6:7], s[6:7]
	v_mov_b32_e32 v10, s10
	s_xor_b64 exec, exec, s[6:7]
	s_cbranch_execnz .LBB3_472
.LBB3_214:
	s_or_b64 exec, exec, s[6:7]
	s_and_saveexec_b64 s[6:7], s[4:5]
	s_cbranch_execz .LBB3_216
.LBB3_215:
	v_mov_b32_e32 v10, 7
	v_and_b32_sdwa v10, v1, v10 dst_sel:DWORD dst_unused:UNUSED_PAD src0_sel:BYTE_1 src1_sel:DWORD
	v_ffbh_u32_e32 v13, v10
	v_min_u32_e32 v13, 32, v13
	v_lshrrev_b16_e32 v12, 11, v1
	v_subrev_u32_e32 v14, 28, v13
	v_and_b32_e32 v12, 15, v12
	v_lshlrev_b32_e32 v14, v14, v10
	v_sub_u32_e32 v13, 29, v13
	v_and_b32_e32 v14, 7, v14
	v_cmp_eq_u16_e32 vcc, 0, v12
	v_lshrrev_b16_e32 v11, 15, v1
	v_cndmask_b32_e32 v10, v10, v14, vcc
	v_cndmask_b32_e32 v12, v12, v13, vcc
	v_mov_b32_e32 v13, 0x3b800000
	v_lshlrev_b32_e32 v10, 20, v10
	v_lshlrev_b32_e32 v11, 31, v11
	v_lshl_add_u32 v12, v12, 23, v13
	v_or3_b32 v10, v11, v12, v10
.LBB3_216:
	s_or_b64 exec, exec, s[6:7]
	s_movk_i32 s4, 0xff
	v_and_b32_sdwa v12, v1, s4 dst_sel:DWORD dst_unused:UNUSED_PAD src0_sel:WORD_1 src1_sel:DWORD
	s_movk_i32 s4, 0x7f
	v_cmp_lt_i16_e32 vcc, s4, v12
	s_mov_b64 s[4:5], 0
                                        ; implicit-def: $sgpr10
	s_and_saveexec_b64 s[6:7], vcc
	s_xor_b64 s[6:7], exec, s[6:7]
	s_cbranch_execnz .LBB3_473
; %bb.217:
	s_or_saveexec_b64 s[6:7], s[6:7]
	v_mov_b32_e32 v11, s10
	s_xor_b64 exec, exec, s[6:7]
	s_cbranch_execnz .LBB3_476
.LBB3_218:
	s_or_b64 exec, exec, s[6:7]
	s_and_saveexec_b64 s[6:7], s[4:5]
	s_cbranch_execz .LBB3_220
.LBB3_219:
	v_mov_b32_e32 v11, 7
	v_and_b32_sdwa v12, v1, v11 dst_sel:DWORD dst_unused:UNUSED_PAD src0_sel:WORD_1 src1_sel:DWORD
	v_ffbh_u32_e32 v14, v12
	v_mov_b32_e32 v13, 3
	v_min_u32_e32 v14, 32, v14
	v_lshrrev_b16_sdwa v13, v13, v1 dst_sel:DWORD dst_unused:UNUSED_PAD src0_sel:DWORD src1_sel:WORD_1
	v_subrev_u32_e32 v15, 28, v14
	v_and_b32_e32 v13, 15, v13
	v_lshlrev_b32_e32 v15, v15, v12
	v_sub_u32_e32 v14, 29, v14
	v_and_b32_e32 v15, 7, v15
	v_cmp_eq_u16_e32 vcc, 0, v13
	v_lshrrev_b16_sdwa v11, v11, v1 dst_sel:DWORD dst_unused:UNUSED_PAD src0_sel:DWORD src1_sel:WORD_1
	v_cndmask_b32_e32 v12, v12, v15, vcc
	v_cndmask_b32_e32 v13, v13, v14, vcc
	v_mov_b32_e32 v14, 0x3b800000
	v_lshlrev_b32_e32 v12, 20, v12
	v_lshlrev_b32_e32 v11, 31, v11
	v_lshl_add_u32 v13, v13, 23, v14
	v_or3_b32 v11, v11, v13, v12
.LBB3_220:
	s_or_b64 exec, exec, s[6:7]
	v_mov_b32_e32 v12, 8
	v_lshrrev_b16_sdwa v13, v12, v1 dst_sel:DWORD dst_unused:UNUSED_PAD src0_sel:DWORD src1_sel:WORD_1
	s_movk_i32 s4, 0x7f
	v_cmp_lt_i16_e32 vcc, s4, v13
	s_mov_b64 s[4:5], 0
                                        ; implicit-def: $sgpr10
	s_and_saveexec_b64 s[6:7], vcc
	s_xor_b64 s[6:7], exec, s[6:7]
	s_cbranch_execnz .LBB3_477
; %bb.221:
	s_or_saveexec_b64 s[6:7], s[6:7]
	v_mov_b32_e32 v12, s10
	s_xor_b64 exec, exec, s[6:7]
	s_cbranch_execnz .LBB3_480
.LBB3_222:
	s_or_b64 exec, exec, s[6:7]
	s_and_saveexec_b64 s[6:7], s[4:5]
	s_cbranch_execz .LBB3_224
.LBB3_223:
	v_mov_b32_e32 v12, 8
	v_lshrrev_b16_sdwa v12, v12, v1 dst_sel:DWORD dst_unused:UNUSED_PAD src0_sel:DWORD src1_sel:WORD_1
	v_and_b32_e32 v12, 7, v12
	v_mov_b32_e32 v13, 15
	v_mov_b32_e32 v14, 11
	v_lshrrev_b16_sdwa v13, v13, v1 dst_sel:DWORD dst_unused:UNUSED_PAD src0_sel:DWORD src1_sel:WORD_1
	v_lshrrev_b16_sdwa v1, v14, v1 dst_sel:DWORD dst_unused:UNUSED_PAD src0_sel:DWORD src1_sel:WORD_1
	v_ffbh_u32_e32 v14, v12
	v_min_u32_e32 v14, 32, v14
	v_subrev_u32_e32 v15, 28, v14
	v_and_b32_e32 v1, 15, v1
	v_lshlrev_b32_e32 v15, v15, v12
	v_sub_u32_e32 v14, 29, v14
	v_and_b32_e32 v15, 7, v15
	v_cmp_eq_u16_e32 vcc, 0, v1
	v_cndmask_b32_e32 v12, v12, v15, vcc
	v_cndmask_b32_e32 v1, v1, v14, vcc
	v_mov_b32_e32 v14, 0x3b800000
	v_lshlrev_b32_e32 v12, 20, v12
	v_lshlrev_b32_e32 v13, 31, v13
	v_lshl_add_u32 v1, v1, 23, v14
	v_or3_b32 v12, v13, v1, v12
.LBB3_224:
	s_or_b64 exec, exec, s[6:7]
	s_movk_i32 s4, 0x7f
	v_cmp_gt_i16_sdwa s[6:7], v2, s4 src0_sel:BYTE_0 src1_sel:DWORD
	s_mov_b64 s[4:5], 0
                                        ; implicit-def: $sgpr10
	s_and_saveexec_b64 s[8:9], s[6:7]
	s_xor_b64 s[6:7], exec, s[8:9]
	s_cbranch_execnz .LBB3_481
; %bb.225:
	s_or_saveexec_b64 s[6:7], s[6:7]
	v_mov_b32_e32 v1, s10
	s_xor_b64 exec, exec, s[6:7]
	s_cbranch_execnz .LBB3_484
.LBB3_226:
	s_or_b64 exec, exec, s[6:7]
	s_and_saveexec_b64 s[6:7], s[4:5]
	s_cbranch_execz .LBB3_228
.LBB3_227:
	v_and_b32_e32 v1, 7, v2
	v_ffbh_u32_e32 v15, v1
	v_min_u32_e32 v15, 32, v15
	v_lshrrev_b16_e32 v14, 3, v2
	v_subrev_u32_e32 v16, 28, v15
	v_and_b32_e32 v14, 15, v14
	v_lshlrev_b32_e32 v16, v16, v1
	v_sub_u32_e32 v15, 29, v15
	v_and_b32_e32 v16, 7, v16
	v_cmp_eq_u16_e32 vcc, 0, v14
	v_lshrrev_b16_e32 v13, 7, v2
	v_cndmask_b32_e32 v1, v1, v16, vcc
	v_cndmask_b32_e32 v14, v14, v15, vcc
	v_mov_b32_e32 v15, 0x3b800000
	v_lshlrev_b32_e32 v1, 20, v1
	v_lshlrev_b32_e32 v13, 31, v13
	v_lshl_add_u32 v14, v14, 23, v15
	v_or3_b32 v1, v13, v14, v1
.LBB3_228:
	s_or_b64 exec, exec, s[6:7]
	s_movk_i32 s4, 0x7f
	v_cmp_gt_i16_sdwa s[6:7], v2, s4 src0_sel:BYTE_1 src1_sel:DWORD
	s_mov_b64 s[4:5], 0
                                        ; implicit-def: $sgpr10
	s_and_saveexec_b64 s[8:9], s[6:7]
	s_xor_b64 s[6:7], exec, s[8:9]
	s_cbranch_execnz .LBB3_485
; %bb.229:
	s_or_saveexec_b64 s[6:7], s[6:7]
	v_mov_b32_e32 v13, s10
	s_xor_b64 exec, exec, s[6:7]
	s_cbranch_execnz .LBB3_488
.LBB3_230:
	s_or_b64 exec, exec, s[6:7]
	s_and_saveexec_b64 s[6:7], s[4:5]
	s_cbranch_execz .LBB3_232
.LBB3_231:
	v_mov_b32_e32 v13, 7
	v_and_b32_sdwa v13, v2, v13 dst_sel:DWORD dst_unused:UNUSED_PAD src0_sel:BYTE_1 src1_sel:DWORD
	v_ffbh_u32_e32 v16, v13
	v_min_u32_e32 v16, 32, v16
	v_lshrrev_b16_e32 v15, 11, v2
	v_subrev_u32_e32 v17, 28, v16
	v_and_b32_e32 v15, 15, v15
	v_lshlrev_b32_e32 v17, v17, v13
	v_sub_u32_e32 v16, 29, v16
	v_and_b32_e32 v17, 7, v17
	v_cmp_eq_u16_e32 vcc, 0, v15
	v_lshrrev_b16_e32 v14, 15, v2
	v_cndmask_b32_e32 v13, v13, v17, vcc
	v_cndmask_b32_e32 v15, v15, v16, vcc
	v_mov_b32_e32 v16, 0x3b800000
	v_lshlrev_b32_e32 v13, 20, v13
	v_lshlrev_b32_e32 v14, 31, v14
	v_lshl_add_u32 v15, v15, 23, v16
	v_or3_b32 v13, v14, v15, v13
.LBB3_232:
	s_or_b64 exec, exec, s[6:7]
	s_movk_i32 s4, 0xff
	v_and_b32_sdwa v15, v2, s4 dst_sel:DWORD dst_unused:UNUSED_PAD src0_sel:WORD_1 src1_sel:DWORD
	s_movk_i32 s4, 0x7f
	v_cmp_lt_i16_e32 vcc, s4, v15
	s_mov_b64 s[4:5], 0
                                        ; implicit-def: $sgpr10
	s_and_saveexec_b64 s[6:7], vcc
	s_xor_b64 s[6:7], exec, s[6:7]
	s_cbranch_execnz .LBB3_489
; %bb.233:
	s_or_saveexec_b64 s[6:7], s[6:7]
	v_mov_b32_e32 v14, s10
	s_xor_b64 exec, exec, s[6:7]
	s_cbranch_execnz .LBB3_492
.LBB3_234:
	s_or_b64 exec, exec, s[6:7]
	s_and_saveexec_b64 s[6:7], s[4:5]
	s_cbranch_execz .LBB3_236
.LBB3_235:
	v_mov_b32_e32 v14, 7
	v_and_b32_sdwa v15, v2, v14 dst_sel:DWORD dst_unused:UNUSED_PAD src0_sel:WORD_1 src1_sel:DWORD
	v_ffbh_u32_e32 v17, v15
	v_mov_b32_e32 v16, 3
	v_min_u32_e32 v17, 32, v17
	v_lshrrev_b16_sdwa v16, v16, v2 dst_sel:DWORD dst_unused:UNUSED_PAD src0_sel:DWORD src1_sel:WORD_1
	v_subrev_u32_e32 v18, 28, v17
	v_and_b32_e32 v16, 15, v16
	v_lshlrev_b32_e32 v18, v18, v15
	v_sub_u32_e32 v17, 29, v17
	v_and_b32_e32 v18, 7, v18
	v_cmp_eq_u16_e32 vcc, 0, v16
	v_lshrrev_b16_sdwa v14, v14, v2 dst_sel:DWORD dst_unused:UNUSED_PAD src0_sel:DWORD src1_sel:WORD_1
	v_cndmask_b32_e32 v15, v15, v18, vcc
	v_cndmask_b32_e32 v16, v16, v17, vcc
	v_mov_b32_e32 v17, 0x3b800000
	v_lshlrev_b32_e32 v15, 20, v15
	v_lshlrev_b32_e32 v14, 31, v14
	v_lshl_add_u32 v16, v16, 23, v17
	v_or3_b32 v14, v14, v16, v15
.LBB3_236:
	s_or_b64 exec, exec, s[6:7]
	v_mov_b32_e32 v15, 8
	v_lshrrev_b16_sdwa v16, v15, v2 dst_sel:DWORD dst_unused:UNUSED_PAD src0_sel:DWORD src1_sel:WORD_1
	s_movk_i32 s4, 0x7f
	v_cmp_lt_i16_e32 vcc, s4, v16
	s_mov_b64 s[4:5], 0
                                        ; implicit-def: $sgpr10
	s_and_saveexec_b64 s[6:7], vcc
	s_xor_b64 s[6:7], exec, s[6:7]
	s_cbranch_execnz .LBB3_493
; %bb.237:
	s_or_saveexec_b64 s[6:7], s[6:7]
	v_mov_b32_e32 v15, s10
	s_xor_b64 exec, exec, s[6:7]
	s_cbranch_execnz .LBB3_496
.LBB3_238:
	s_or_b64 exec, exec, s[6:7]
	s_and_saveexec_b64 s[6:7], s[4:5]
	s_cbranch_execz .LBB3_240
.LBB3_239:
	v_mov_b32_e32 v15, 8
	v_lshrrev_b16_sdwa v15, v15, v2 dst_sel:DWORD dst_unused:UNUSED_PAD src0_sel:DWORD src1_sel:WORD_1
	v_and_b32_e32 v15, 7, v15
	v_mov_b32_e32 v16, 15
	v_mov_b32_e32 v17, 11
	v_lshrrev_b16_sdwa v16, v16, v2 dst_sel:DWORD dst_unused:UNUSED_PAD src0_sel:DWORD src1_sel:WORD_1
	v_lshrrev_b16_sdwa v2, v17, v2 dst_sel:DWORD dst_unused:UNUSED_PAD src0_sel:DWORD src1_sel:WORD_1
	v_ffbh_u32_e32 v17, v15
	v_min_u32_e32 v17, 32, v17
	v_subrev_u32_e32 v18, 28, v17
	v_and_b32_e32 v2, 15, v2
	v_lshlrev_b32_e32 v18, v18, v15
	v_sub_u32_e32 v17, 29, v17
	v_and_b32_e32 v18, 7, v18
	v_cmp_eq_u16_e32 vcc, 0, v2
	v_cndmask_b32_e32 v15, v15, v18, vcc
	v_cndmask_b32_e32 v2, v2, v17, vcc
	v_mov_b32_e32 v17, 0x3b800000
	v_lshlrev_b32_e32 v15, 20, v15
	v_lshlrev_b32_e32 v16, 31, v16
	v_lshl_add_u32 v2, v2, 23, v17
	v_or3_b32 v15, v16, v2, v15
.LBB3_240:
	s_or_b64 exec, exec, s[6:7]
	s_movk_i32 s4, 0x7f
	v_cmp_gt_i16_sdwa s[6:7], v3, s4 src0_sel:BYTE_0 src1_sel:DWORD
	s_mov_b64 s[4:5], 0
                                        ; implicit-def: $sgpr10
	s_and_saveexec_b64 s[8:9], s[6:7]
	s_xor_b64 s[6:7], exec, s[8:9]
	s_cbranch_execnz .LBB3_497
; %bb.241:
	s_or_saveexec_b64 s[6:7], s[6:7]
	v_mov_b32_e32 v2, s10
	s_xor_b64 exec, exec, s[6:7]
	s_cbranch_execnz .LBB3_500
.LBB3_242:
	s_or_b64 exec, exec, s[6:7]
	s_and_saveexec_b64 s[6:7], s[4:5]
	s_cbranch_execz .LBB3_244
.LBB3_243:
	v_and_b32_e32 v2, 7, v3
	v_ffbh_u32_e32 v18, v2
	v_min_u32_e32 v18, 32, v18
	v_lshrrev_b16_e32 v17, 3, v3
	v_subrev_u32_e32 v19, 28, v18
	v_and_b32_e32 v17, 15, v17
	v_lshlrev_b32_e32 v19, v19, v2
	v_sub_u32_e32 v18, 29, v18
	v_and_b32_e32 v19, 7, v19
	v_cmp_eq_u16_e32 vcc, 0, v17
	v_lshrrev_b16_e32 v16, 7, v3
	v_cndmask_b32_e32 v2, v2, v19, vcc
	v_cndmask_b32_e32 v17, v17, v18, vcc
	v_mov_b32_e32 v18, 0x3b800000
	v_lshlrev_b32_e32 v2, 20, v2
	v_lshlrev_b32_e32 v16, 31, v16
	v_lshl_add_u32 v17, v17, 23, v18
	v_or3_b32 v2, v16, v17, v2
.LBB3_244:
	s_or_b64 exec, exec, s[6:7]
	s_movk_i32 s4, 0x7f
	v_cmp_gt_i16_sdwa s[6:7], v3, s4 src0_sel:BYTE_1 src1_sel:DWORD
	s_mov_b64 s[4:5], 0
                                        ; implicit-def: $sgpr10
	s_and_saveexec_b64 s[8:9], s[6:7]
	s_xor_b64 s[6:7], exec, s[8:9]
	s_cbranch_execnz .LBB3_501
; %bb.245:
	s_or_saveexec_b64 s[6:7], s[6:7]
	v_mov_b32_e32 v16, s10
	s_xor_b64 exec, exec, s[6:7]
	s_cbranch_execnz .LBB3_504
.LBB3_246:
	s_or_b64 exec, exec, s[6:7]
	s_and_saveexec_b64 s[6:7], s[4:5]
	s_cbranch_execz .LBB3_248
.LBB3_247:
	v_mov_b32_e32 v16, 7
	v_and_b32_sdwa v16, v3, v16 dst_sel:DWORD dst_unused:UNUSED_PAD src0_sel:BYTE_1 src1_sel:DWORD
	v_ffbh_u32_e32 v19, v16
	v_min_u32_e32 v19, 32, v19
	v_lshrrev_b16_e32 v18, 11, v3
	v_subrev_u32_e32 v20, 28, v19
	v_and_b32_e32 v18, 15, v18
	v_lshlrev_b32_e32 v20, v20, v16
	v_sub_u32_e32 v19, 29, v19
	v_and_b32_e32 v20, 7, v20
	v_cmp_eq_u16_e32 vcc, 0, v18
	v_lshrrev_b16_e32 v17, 15, v3
	v_cndmask_b32_e32 v16, v16, v20, vcc
	v_cndmask_b32_e32 v18, v18, v19, vcc
	v_mov_b32_e32 v19, 0x3b800000
	v_lshlrev_b32_e32 v16, 20, v16
	v_lshlrev_b32_e32 v17, 31, v17
	v_lshl_add_u32 v18, v18, 23, v19
	v_or3_b32 v16, v17, v18, v16
.LBB3_248:
	s_or_b64 exec, exec, s[6:7]
	s_movk_i32 s4, 0xff
	v_and_b32_sdwa v18, v3, s4 dst_sel:DWORD dst_unused:UNUSED_PAD src0_sel:WORD_1 src1_sel:DWORD
	s_movk_i32 s4, 0x7f
	v_cmp_lt_i16_e32 vcc, s4, v18
	s_mov_b64 s[4:5], 0
                                        ; implicit-def: $sgpr10
	s_and_saveexec_b64 s[6:7], vcc
	s_xor_b64 s[6:7], exec, s[6:7]
	s_cbranch_execnz .LBB3_505
; %bb.249:
	s_or_saveexec_b64 s[6:7], s[6:7]
	v_mov_b32_e32 v17, s10
	s_xor_b64 exec, exec, s[6:7]
	s_cbranch_execnz .LBB3_508
.LBB3_250:
	s_or_b64 exec, exec, s[6:7]
	s_and_saveexec_b64 s[6:7], s[4:5]
	s_cbranch_execz .LBB3_252
.LBB3_251:
	v_mov_b32_e32 v17, 7
	v_and_b32_sdwa v18, v3, v17 dst_sel:DWORD dst_unused:UNUSED_PAD src0_sel:WORD_1 src1_sel:DWORD
	v_ffbh_u32_e32 v20, v18
	v_mov_b32_e32 v19, 3
	v_min_u32_e32 v20, 32, v20
	v_lshrrev_b16_sdwa v19, v19, v3 dst_sel:DWORD dst_unused:UNUSED_PAD src0_sel:DWORD src1_sel:WORD_1
	v_subrev_u32_e32 v21, 28, v20
	v_and_b32_e32 v19, 15, v19
	v_lshlrev_b32_e32 v21, v21, v18
	v_sub_u32_e32 v20, 29, v20
	v_and_b32_e32 v21, 7, v21
	v_cmp_eq_u16_e32 vcc, 0, v19
	v_lshrrev_b16_sdwa v17, v17, v3 dst_sel:DWORD dst_unused:UNUSED_PAD src0_sel:DWORD src1_sel:WORD_1
	v_cndmask_b32_e32 v18, v18, v21, vcc
	v_cndmask_b32_e32 v19, v19, v20, vcc
	v_mov_b32_e32 v20, 0x3b800000
	v_lshlrev_b32_e32 v18, 20, v18
	v_lshlrev_b32_e32 v17, 31, v17
	v_lshl_add_u32 v19, v19, 23, v20
	v_or3_b32 v17, v17, v19, v18
.LBB3_252:
	s_or_b64 exec, exec, s[6:7]
	v_mov_b32_e32 v18, 8
	v_lshrrev_b16_sdwa v19, v18, v3 dst_sel:DWORD dst_unused:UNUSED_PAD src0_sel:DWORD src1_sel:WORD_1
	s_movk_i32 s4, 0x7f
	v_cmp_lt_i16_e32 vcc, s4, v19
	s_mov_b64 s[4:5], 0
                                        ; implicit-def: $sgpr10
	s_and_saveexec_b64 s[6:7], vcc
	s_xor_b64 s[6:7], exec, s[6:7]
	s_cbranch_execnz .LBB3_509
; %bb.253:
	s_or_saveexec_b64 s[6:7], s[6:7]
	v_mov_b32_e32 v18, s10
	s_xor_b64 exec, exec, s[6:7]
	s_cbranch_execnz .LBB3_512
.LBB3_254:
	s_or_b64 exec, exec, s[6:7]
	s_and_saveexec_b64 s[6:7], s[4:5]
	s_cbranch_execz .LBB3_256
.LBB3_255:
	v_mov_b32_e32 v18, 8
	v_lshrrev_b16_sdwa v18, v18, v3 dst_sel:DWORD dst_unused:UNUSED_PAD src0_sel:DWORD src1_sel:WORD_1
	v_and_b32_e32 v18, 7, v18
	v_mov_b32_e32 v19, 15
	v_mov_b32_e32 v20, 11
	v_lshrrev_b16_sdwa v19, v19, v3 dst_sel:DWORD dst_unused:UNUSED_PAD src0_sel:DWORD src1_sel:WORD_1
	v_lshrrev_b16_sdwa v3, v20, v3 dst_sel:DWORD dst_unused:UNUSED_PAD src0_sel:DWORD src1_sel:WORD_1
	v_ffbh_u32_e32 v20, v18
	v_min_u32_e32 v20, 32, v20
	v_subrev_u32_e32 v21, 28, v20
	v_and_b32_e32 v3, 15, v3
	v_lshlrev_b32_e32 v21, v21, v18
	v_sub_u32_e32 v20, 29, v20
	v_and_b32_e32 v21, 7, v21
	v_cmp_eq_u16_e32 vcc, 0, v3
	v_cndmask_b32_e32 v18, v18, v21, vcc
	v_cndmask_b32_e32 v3, v3, v20, vcc
	v_mov_b32_e32 v20, 0x3b800000
	v_lshlrev_b32_e32 v18, 20, v18
	v_lshlrev_b32_e32 v19, 31, v19
	v_lshl_add_u32 v3, v3, 23, v20
	v_or3_b32 v18, v19, v3, v18
.LBB3_256:
	s_or_b64 exec, exec, s[6:7]
	v_cvt_pkrtz_f16_f32 v6, v6, v7
	v_cvt_pkrtz_f16_f32 v7, v8, v9
	;; [unrolled: 1-line block ×8, first 2 shown]
	flat_store_dwordx4 v[4:5], v[6:9] offset:224
	flat_store_dwordx4 v[4:5], v[0:3] offset:240
	s_waitcnt vmcnt(0) lgkmcnt(0)
	s_setpc_b64 s[30:31]
.LBB3_257:
	s_movk_i32 s4, 0x80
	v_cmp_eq_u16_sdwa s[12:13], v6, s4 src0_sel:BYTE_0 src1_sel:DWORD
	s_mov_b64 s[4:5], -1
                                        ; implicit-def: $sgpr10
	s_and_saveexec_b64 s[8:9], s[12:13]
; %bb.258:
	s_mov_b32 s10, 0x7f800001
	s_xor_b64 s[4:5], exec, -1
; %bb.259:
	s_or_b64 exec, exec, s[8:9]
	s_and_b64 s[4:5], s[4:5], exec
	s_or_saveexec_b64 s[6:7], s[6:7]
	v_mov_b32_e32 v2, s10
	s_xor_b64 exec, exec, s[6:7]
	s_cbranch_execz .LBB3_2
.LBB3_260:
	v_mov_b32_e32 v2, 0
	v_cmp_ne_u16_sdwa s[8:9], v6, v2 src0_sel:BYTE_0 src1_sel:DWORD
	s_andn2_b64 s[4:5], s[4:5], exec
	s_and_b64 s[8:9], s[8:9], exec
	s_or_b64 s[4:5], s[4:5], s[8:9]
	s_or_b64 exec, exec, s[6:7]
	s_and_saveexec_b64 s[6:7], s[4:5]
	s_cbranch_execnz .LBB3_3
	s_branch .LBB3_4
.LBB3_261:
	s_movk_i32 s4, 0x80
	v_cmp_eq_u16_sdwa s[12:13], v6, s4 src0_sel:BYTE_1 src1_sel:DWORD
	s_mov_b64 s[4:5], -1
                                        ; implicit-def: $sgpr10
	s_and_saveexec_b64 s[8:9], s[12:13]
; %bb.262:
	s_mov_b32 s10, 0x7f800001
	s_xor_b64 s[4:5], exec, -1
; %bb.263:
	s_or_b64 exec, exec, s[8:9]
	s_and_b64 s[4:5], s[4:5], exec
	s_or_saveexec_b64 s[6:7], s[6:7]
	v_mov_b32_e32 v3, s10
	s_xor_b64 exec, exec, s[6:7]
	s_cbranch_execz .LBB3_6
.LBB3_264:
	v_mov_b32_e32 v3, 0
	v_cmp_ne_u16_sdwa s[8:9], v6, v3 src0_sel:BYTE_1 src1_sel:DWORD
	s_andn2_b64 s[4:5], s[4:5], exec
	s_and_b64 s[8:9], s[8:9], exec
	s_or_b64 s[4:5], s[4:5], s[8:9]
	s_or_b64 exec, exec, s[6:7]
	s_and_saveexec_b64 s[6:7], s[4:5]
	s_cbranch_execnz .LBB3_7
	s_branch .LBB3_8
.LBB3_265:
	s_movk_i32 s4, 0x80
	v_cmp_eq_u16_e32 vcc, s4, v13
	s_mov_b64 s[4:5], -1
                                        ; implicit-def: $sgpr10
	s_and_saveexec_b64 s[8:9], vcc
; %bb.266:
	s_mov_b32 s10, 0x7f800001
	s_xor_b64 s[4:5], exec, -1
; %bb.267:
	s_or_b64 exec, exec, s[8:9]
	s_and_b64 s[4:5], s[4:5], exec
                                        ; implicit-def: $vgpr13
	s_or_saveexec_b64 s[6:7], s[6:7]
	v_mov_b32_e32 v12, s10
	s_xor_b64 exec, exec, s[6:7]
	s_cbranch_execz .LBB3_10
.LBB3_268:
	v_cmp_ne_u16_e32 vcc, 0, v13
	s_andn2_b64 s[4:5], s[4:5], exec
	s_and_b64 s[8:9], vcc, exec
	v_mov_b32_e32 v12, 0
	s_or_b64 s[4:5], s[4:5], s[8:9]
	s_or_b64 exec, exec, s[6:7]
	s_and_saveexec_b64 s[6:7], s[4:5]
	s_cbranch_execnz .LBB3_11
	s_branch .LBB3_12
.LBB3_269:
	s_movk_i32 s4, 0x80
	v_cmp_eq_u16_e32 vcc, s4, v14
	s_mov_b64 s[4:5], -1
                                        ; implicit-def: $sgpr10
	s_and_saveexec_b64 s[8:9], vcc
; %bb.270:
	s_mov_b32 s10, 0x7f800001
	s_xor_b64 s[4:5], exec, -1
; %bb.271:
	s_or_b64 exec, exec, s[8:9]
	s_and_b64 s[4:5], s[4:5], exec
                                        ; implicit-def: $vgpr14
	s_or_saveexec_b64 s[6:7], s[6:7]
	v_mov_b32_e32 v13, s10
	s_xor_b64 exec, exec, s[6:7]
	s_cbranch_execz .LBB3_14
.LBB3_272:
	v_cmp_ne_u16_e32 vcc, 0, v14
	s_andn2_b64 s[4:5], s[4:5], exec
	s_and_b64 s[8:9], vcc, exec
	v_mov_b32_e32 v13, 0
	s_or_b64 s[4:5], s[4:5], s[8:9]
	s_or_b64 exec, exec, s[6:7]
	s_and_saveexec_b64 s[6:7], s[4:5]
	s_cbranch_execnz .LBB3_15
	s_branch .LBB3_16
.LBB3_273:
	s_movk_i32 s4, 0x80
	v_cmp_eq_u16_sdwa s[12:13], v7, s4 src0_sel:BYTE_0 src1_sel:DWORD
	s_mov_b64 s[4:5], -1
                                        ; implicit-def: $sgpr10
	s_and_saveexec_b64 s[8:9], s[12:13]
; %bb.274:
	s_mov_b32 s10, 0x7f800001
	s_xor_b64 s[4:5], exec, -1
; %bb.275:
	s_or_b64 exec, exec, s[8:9]
	s_and_b64 s[4:5], s[4:5], exec
	s_or_saveexec_b64 s[6:7], s[6:7]
	v_mov_b32_e32 v6, s10
	s_xor_b64 exec, exec, s[6:7]
	s_cbranch_execz .LBB3_18
.LBB3_276:
	v_mov_b32_e32 v6, 0
	v_cmp_ne_u16_sdwa s[8:9], v7, v6 src0_sel:BYTE_0 src1_sel:DWORD
	s_andn2_b64 s[4:5], s[4:5], exec
	s_and_b64 s[8:9], s[8:9], exec
	s_or_b64 s[4:5], s[4:5], s[8:9]
	s_or_b64 exec, exec, s[6:7]
	s_and_saveexec_b64 s[6:7], s[4:5]
	s_cbranch_execnz .LBB3_19
	s_branch .LBB3_20
.LBB3_277:
	s_movk_i32 s4, 0x80
	v_cmp_eq_u16_sdwa s[12:13], v7, s4 src0_sel:BYTE_1 src1_sel:DWORD
	s_mov_b64 s[4:5], -1
                                        ; implicit-def: $sgpr10
	s_and_saveexec_b64 s[8:9], s[12:13]
; %bb.278:
	s_mov_b32 s10, 0x7f800001
	s_xor_b64 s[4:5], exec, -1
; %bb.279:
	s_or_b64 exec, exec, s[8:9]
	s_and_b64 s[4:5], s[4:5], exec
	s_or_saveexec_b64 s[6:7], s[6:7]
	v_mov_b32_e32 v14, s10
	s_xor_b64 exec, exec, s[6:7]
	s_cbranch_execz .LBB3_22
.LBB3_280:
	v_mov_b32_e32 v14, 0
	v_cmp_ne_u16_sdwa s[8:9], v7, v14 src0_sel:BYTE_1 src1_sel:DWORD
	s_andn2_b64 s[4:5], s[4:5], exec
	s_and_b64 s[8:9], s[8:9], exec
	s_or_b64 s[4:5], s[4:5], s[8:9]
	s_or_b64 exec, exec, s[6:7]
	s_and_saveexec_b64 s[6:7], s[4:5]
	s_cbranch_execnz .LBB3_23
	s_branch .LBB3_24
.LBB3_281:
	s_movk_i32 s4, 0x80
	v_cmp_eq_u16_e32 vcc, s4, v16
	s_mov_b64 s[4:5], -1
                                        ; implicit-def: $sgpr10
	s_and_saveexec_b64 s[8:9], vcc
; %bb.282:
	s_mov_b32 s10, 0x7f800001
	s_xor_b64 s[4:5], exec, -1
; %bb.283:
	s_or_b64 exec, exec, s[8:9]
	s_and_b64 s[4:5], s[4:5], exec
                                        ; implicit-def: $vgpr16
	s_or_saveexec_b64 s[6:7], s[6:7]
	v_mov_b32_e32 v15, s10
	s_xor_b64 exec, exec, s[6:7]
	s_cbranch_execz .LBB3_26
.LBB3_284:
	v_cmp_ne_u16_e32 vcc, 0, v16
	s_andn2_b64 s[4:5], s[4:5], exec
	s_and_b64 s[8:9], vcc, exec
	v_mov_b32_e32 v15, 0
	s_or_b64 s[4:5], s[4:5], s[8:9]
	s_or_b64 exec, exec, s[6:7]
	s_and_saveexec_b64 s[6:7], s[4:5]
	s_cbranch_execnz .LBB3_27
	s_branch .LBB3_28
.LBB3_285:
	s_movk_i32 s4, 0x80
	v_cmp_eq_u16_e32 vcc, s4, v17
	s_mov_b64 s[4:5], -1
                                        ; implicit-def: $sgpr10
	s_and_saveexec_b64 s[8:9], vcc
; %bb.286:
	s_mov_b32 s10, 0x7f800001
	s_xor_b64 s[4:5], exec, -1
; %bb.287:
	s_or_b64 exec, exec, s[8:9]
	s_and_b64 s[4:5], s[4:5], exec
                                        ; implicit-def: $vgpr17
	s_or_saveexec_b64 s[6:7], s[6:7]
	v_mov_b32_e32 v16, s10
	s_xor_b64 exec, exec, s[6:7]
	s_cbranch_execz .LBB3_30
.LBB3_288:
	v_cmp_ne_u16_e32 vcc, 0, v17
	s_andn2_b64 s[4:5], s[4:5], exec
	s_and_b64 s[8:9], vcc, exec
	v_mov_b32_e32 v16, 0
	s_or_b64 s[4:5], s[4:5], s[8:9]
	s_or_b64 exec, exec, s[6:7]
	s_and_saveexec_b64 s[6:7], s[4:5]
	s_cbranch_execnz .LBB3_31
	s_branch .LBB3_32
.LBB3_289:
	s_movk_i32 s4, 0x80
	v_cmp_eq_u16_sdwa s[12:13], v8, s4 src0_sel:BYTE_0 src1_sel:DWORD
	s_mov_b64 s[4:5], -1
                                        ; implicit-def: $sgpr10
	s_and_saveexec_b64 s[8:9], s[12:13]
; %bb.290:
	s_mov_b32 s10, 0x7f800001
	s_xor_b64 s[4:5], exec, -1
; %bb.291:
	s_or_b64 exec, exec, s[8:9]
	s_and_b64 s[4:5], s[4:5], exec
	s_or_saveexec_b64 s[6:7], s[6:7]
	v_mov_b32_e32 v7, s10
	s_xor_b64 exec, exec, s[6:7]
	s_cbranch_execz .LBB3_34
.LBB3_292:
	v_mov_b32_e32 v7, 0
	v_cmp_ne_u16_sdwa s[8:9], v8, v7 src0_sel:BYTE_0 src1_sel:DWORD
	s_andn2_b64 s[4:5], s[4:5], exec
	s_and_b64 s[8:9], s[8:9], exec
	s_or_b64 s[4:5], s[4:5], s[8:9]
	s_or_b64 exec, exec, s[6:7]
	s_and_saveexec_b64 s[6:7], s[4:5]
	s_cbranch_execnz .LBB3_35
	s_branch .LBB3_36
.LBB3_293:
	s_movk_i32 s4, 0x80
	v_cmp_eq_u16_sdwa s[12:13], v8, s4 src0_sel:BYTE_1 src1_sel:DWORD
	s_mov_b64 s[4:5], -1
                                        ; implicit-def: $sgpr10
	s_and_saveexec_b64 s[8:9], s[12:13]
; %bb.294:
	s_mov_b32 s10, 0x7f800001
	s_xor_b64 s[4:5], exec, -1
; %bb.295:
	s_or_b64 exec, exec, s[8:9]
	s_and_b64 s[4:5], s[4:5], exec
	s_or_saveexec_b64 s[6:7], s[6:7]
	v_mov_b32_e32 v17, s10
	s_xor_b64 exec, exec, s[6:7]
	s_cbranch_execz .LBB3_38
.LBB3_296:
	v_mov_b32_e32 v17, 0
	v_cmp_ne_u16_sdwa s[8:9], v8, v17 src0_sel:BYTE_1 src1_sel:DWORD
	s_andn2_b64 s[4:5], s[4:5], exec
	s_and_b64 s[8:9], s[8:9], exec
	s_or_b64 s[4:5], s[4:5], s[8:9]
	s_or_b64 exec, exec, s[6:7]
	s_and_saveexec_b64 s[6:7], s[4:5]
	s_cbranch_execnz .LBB3_39
	s_branch .LBB3_40
.LBB3_297:
	s_movk_i32 s4, 0x80
	v_cmp_eq_u16_e32 vcc, s4, v19
	s_mov_b64 s[4:5], -1
                                        ; implicit-def: $sgpr10
	s_and_saveexec_b64 s[8:9], vcc
; %bb.298:
	s_mov_b32 s10, 0x7f800001
	s_xor_b64 s[4:5], exec, -1
; %bb.299:
	s_or_b64 exec, exec, s[8:9]
	s_and_b64 s[4:5], s[4:5], exec
                                        ; implicit-def: $vgpr19
	s_or_saveexec_b64 s[6:7], s[6:7]
	v_mov_b32_e32 v18, s10
	s_xor_b64 exec, exec, s[6:7]
	s_cbranch_execz .LBB3_42
.LBB3_300:
	v_cmp_ne_u16_e32 vcc, 0, v19
	s_andn2_b64 s[4:5], s[4:5], exec
	s_and_b64 s[8:9], vcc, exec
	v_mov_b32_e32 v18, 0
	s_or_b64 s[4:5], s[4:5], s[8:9]
	s_or_b64 exec, exec, s[6:7]
	s_and_saveexec_b64 s[6:7], s[4:5]
	s_cbranch_execnz .LBB3_43
	s_branch .LBB3_44
.LBB3_301:
	s_movk_i32 s4, 0x80
	v_cmp_eq_u16_e32 vcc, s4, v20
	s_mov_b64 s[4:5], -1
                                        ; implicit-def: $sgpr10
	s_and_saveexec_b64 s[8:9], vcc
; %bb.302:
	s_mov_b32 s10, 0x7f800001
	s_xor_b64 s[4:5], exec, -1
; %bb.303:
	s_or_b64 exec, exec, s[8:9]
	s_and_b64 s[4:5], s[4:5], exec
                                        ; implicit-def: $vgpr20
	s_or_saveexec_b64 s[6:7], s[6:7]
	v_mov_b32_e32 v19, s10
	s_xor_b64 exec, exec, s[6:7]
	s_cbranch_execz .LBB3_46
.LBB3_304:
	v_cmp_ne_u16_e32 vcc, 0, v20
	s_andn2_b64 s[4:5], s[4:5], exec
	s_and_b64 s[8:9], vcc, exec
	v_mov_b32_e32 v19, 0
	s_or_b64 s[4:5], s[4:5], s[8:9]
	s_or_b64 exec, exec, s[6:7]
	s_and_saveexec_b64 s[6:7], s[4:5]
	s_cbranch_execnz .LBB3_47
	s_branch .LBB3_48
.LBB3_305:
	s_movk_i32 s4, 0x80
	v_cmp_eq_u16_sdwa s[12:13], v9, s4 src0_sel:BYTE_0 src1_sel:DWORD
	s_mov_b64 s[4:5], -1
                                        ; implicit-def: $sgpr10
	s_and_saveexec_b64 s[8:9], s[12:13]
; %bb.306:
	s_mov_b32 s10, 0x7f800001
	s_xor_b64 s[4:5], exec, -1
; %bb.307:
	s_or_b64 exec, exec, s[8:9]
	s_and_b64 s[4:5], s[4:5], exec
	s_or_saveexec_b64 s[6:7], s[6:7]
	v_mov_b32_e32 v8, s10
	s_xor_b64 exec, exec, s[6:7]
	s_cbranch_execz .LBB3_50
.LBB3_308:
	v_mov_b32_e32 v8, 0
	v_cmp_ne_u16_sdwa s[8:9], v9, v8 src0_sel:BYTE_0 src1_sel:DWORD
	s_andn2_b64 s[4:5], s[4:5], exec
	s_and_b64 s[8:9], s[8:9], exec
	s_or_b64 s[4:5], s[4:5], s[8:9]
	s_or_b64 exec, exec, s[6:7]
	s_and_saveexec_b64 s[6:7], s[4:5]
	s_cbranch_execnz .LBB3_51
	s_branch .LBB3_52
.LBB3_309:
	s_movk_i32 s4, 0x80
	v_cmp_eq_u16_sdwa s[12:13], v9, s4 src0_sel:BYTE_1 src1_sel:DWORD
	s_mov_b64 s[4:5], -1
                                        ; implicit-def: $sgpr10
	s_and_saveexec_b64 s[8:9], s[12:13]
; %bb.310:
	s_mov_b32 s10, 0x7f800001
	s_xor_b64 s[4:5], exec, -1
; %bb.311:
	s_or_b64 exec, exec, s[8:9]
	s_and_b64 s[4:5], s[4:5], exec
	s_or_saveexec_b64 s[6:7], s[6:7]
	v_mov_b32_e32 v20, s10
	s_xor_b64 exec, exec, s[6:7]
	s_cbranch_execz .LBB3_54
.LBB3_312:
	v_mov_b32_e32 v20, 0
	v_cmp_ne_u16_sdwa s[8:9], v9, v20 src0_sel:BYTE_1 src1_sel:DWORD
	s_andn2_b64 s[4:5], s[4:5], exec
	s_and_b64 s[8:9], s[8:9], exec
	s_or_b64 s[4:5], s[4:5], s[8:9]
	s_or_b64 exec, exec, s[6:7]
	s_and_saveexec_b64 s[6:7], s[4:5]
	s_cbranch_execnz .LBB3_55
	s_branch .LBB3_56
.LBB3_313:
	s_movk_i32 s4, 0x80
	v_cmp_eq_u16_e32 vcc, s4, v22
	s_mov_b64 s[4:5], -1
                                        ; implicit-def: $sgpr10
	s_and_saveexec_b64 s[8:9], vcc
; %bb.314:
	s_mov_b32 s10, 0x7f800001
	s_xor_b64 s[4:5], exec, -1
; %bb.315:
	s_or_b64 exec, exec, s[8:9]
	s_and_b64 s[4:5], s[4:5], exec
                                        ; implicit-def: $vgpr22
	s_or_saveexec_b64 s[6:7], s[6:7]
	v_mov_b32_e32 v21, s10
	s_xor_b64 exec, exec, s[6:7]
	s_cbranch_execz .LBB3_58
.LBB3_316:
	v_cmp_ne_u16_e32 vcc, 0, v22
	s_andn2_b64 s[4:5], s[4:5], exec
	s_and_b64 s[8:9], vcc, exec
	v_mov_b32_e32 v21, 0
	s_or_b64 s[4:5], s[4:5], s[8:9]
	s_or_b64 exec, exec, s[6:7]
	s_and_saveexec_b64 s[6:7], s[4:5]
	s_cbranch_execnz .LBB3_59
	s_branch .LBB3_60
.LBB3_317:
	s_movk_i32 s4, 0x80
	v_cmp_eq_u16_e32 vcc, s4, v23
	s_mov_b64 s[4:5], -1
                                        ; implicit-def: $sgpr10
	s_and_saveexec_b64 s[8:9], vcc
; %bb.318:
	s_mov_b32 s10, 0x7f800001
	s_xor_b64 s[4:5], exec, -1
; %bb.319:
	s_or_b64 exec, exec, s[8:9]
	s_and_b64 s[4:5], s[4:5], exec
                                        ; implicit-def: $vgpr23
	s_or_saveexec_b64 s[6:7], s[6:7]
	v_mov_b32_e32 v22, s10
	s_xor_b64 exec, exec, s[6:7]
	s_cbranch_execz .LBB3_62
.LBB3_320:
	v_cmp_ne_u16_e32 vcc, 0, v23
	s_andn2_b64 s[4:5], s[4:5], exec
	s_and_b64 s[8:9], vcc, exec
	v_mov_b32_e32 v22, 0
	s_or_b64 s[4:5], s[4:5], s[8:9]
	s_or_b64 exec, exec, s[6:7]
	s_and_saveexec_b64 s[6:7], s[4:5]
	s_cbranch_execnz .LBB3_63
	s_branch .LBB3_64
.LBB3_321:
	s_movk_i32 s4, 0x80
	v_cmp_eq_u16_sdwa s[12:13], v6, s4 src0_sel:BYTE_0 src1_sel:DWORD
	s_mov_b64 s[4:5], -1
                                        ; implicit-def: $sgpr10
	s_and_saveexec_b64 s[8:9], s[12:13]
; %bb.322:
	s_mov_b32 s10, 0x7f800001
	s_xor_b64 s[4:5], exec, -1
; %bb.323:
	s_or_b64 exec, exec, s[8:9]
	s_and_b64 s[4:5], s[4:5], exec
	s_or_saveexec_b64 s[6:7], s[6:7]
	v_mov_b32_e32 v2, s10
	s_xor_b64 exec, exec, s[6:7]
	s_cbranch_execz .LBB3_66
.LBB3_324:
	v_mov_b32_e32 v2, 0
	v_cmp_ne_u16_sdwa s[8:9], v6, v2 src0_sel:BYTE_0 src1_sel:DWORD
	s_andn2_b64 s[4:5], s[4:5], exec
	s_and_b64 s[8:9], s[8:9], exec
	s_or_b64 s[4:5], s[4:5], s[8:9]
	s_or_b64 exec, exec, s[6:7]
	s_and_saveexec_b64 s[6:7], s[4:5]
	s_cbranch_execnz .LBB3_67
	s_branch .LBB3_68
.LBB3_325:
	s_movk_i32 s4, 0x80
	v_cmp_eq_u16_sdwa s[12:13], v6, s4 src0_sel:BYTE_1 src1_sel:DWORD
	s_mov_b64 s[4:5], -1
                                        ; implicit-def: $sgpr10
	s_and_saveexec_b64 s[8:9], s[12:13]
; %bb.326:
	s_mov_b32 s10, 0x7f800001
	s_xor_b64 s[4:5], exec, -1
; %bb.327:
	s_or_b64 exec, exec, s[8:9]
	s_and_b64 s[4:5], s[4:5], exec
	s_or_saveexec_b64 s[6:7], s[6:7]
	v_mov_b32_e32 v3, s10
	s_xor_b64 exec, exec, s[6:7]
	s_cbranch_execz .LBB3_70
.LBB3_328:
	v_mov_b32_e32 v3, 0
	v_cmp_ne_u16_sdwa s[8:9], v6, v3 src0_sel:BYTE_1 src1_sel:DWORD
	s_andn2_b64 s[4:5], s[4:5], exec
	s_and_b64 s[8:9], s[8:9], exec
	s_or_b64 s[4:5], s[4:5], s[8:9]
	s_or_b64 exec, exec, s[6:7]
	s_and_saveexec_b64 s[6:7], s[4:5]
	s_cbranch_execnz .LBB3_71
	s_branch .LBB3_72
.LBB3_329:
	s_movk_i32 s4, 0x80
	v_cmp_eq_u16_e32 vcc, s4, v13
	s_mov_b64 s[4:5], -1
                                        ; implicit-def: $sgpr10
	s_and_saveexec_b64 s[8:9], vcc
; %bb.330:
	s_mov_b32 s10, 0x7f800001
	s_xor_b64 s[4:5], exec, -1
; %bb.331:
	s_or_b64 exec, exec, s[8:9]
	s_and_b64 s[4:5], s[4:5], exec
                                        ; implicit-def: $vgpr13
	s_or_saveexec_b64 s[6:7], s[6:7]
	v_mov_b32_e32 v12, s10
	s_xor_b64 exec, exec, s[6:7]
	s_cbranch_execz .LBB3_74
.LBB3_332:
	v_cmp_ne_u16_e32 vcc, 0, v13
	s_andn2_b64 s[4:5], s[4:5], exec
	s_and_b64 s[8:9], vcc, exec
	v_mov_b32_e32 v12, 0
	s_or_b64 s[4:5], s[4:5], s[8:9]
	s_or_b64 exec, exec, s[6:7]
	s_and_saveexec_b64 s[6:7], s[4:5]
	s_cbranch_execnz .LBB3_75
	s_branch .LBB3_76
.LBB3_333:
	s_movk_i32 s4, 0x80
	v_cmp_eq_u16_e32 vcc, s4, v14
	s_mov_b64 s[4:5], -1
                                        ; implicit-def: $sgpr10
	s_and_saveexec_b64 s[8:9], vcc
; %bb.334:
	s_mov_b32 s10, 0x7f800001
	s_xor_b64 s[4:5], exec, -1
; %bb.335:
	s_or_b64 exec, exec, s[8:9]
	s_and_b64 s[4:5], s[4:5], exec
                                        ; implicit-def: $vgpr14
	s_or_saveexec_b64 s[6:7], s[6:7]
	v_mov_b32_e32 v13, s10
	s_xor_b64 exec, exec, s[6:7]
	s_cbranch_execz .LBB3_78
.LBB3_336:
	v_cmp_ne_u16_e32 vcc, 0, v14
	s_andn2_b64 s[4:5], s[4:5], exec
	s_and_b64 s[8:9], vcc, exec
	v_mov_b32_e32 v13, 0
	s_or_b64 s[4:5], s[4:5], s[8:9]
	s_or_b64 exec, exec, s[6:7]
	s_and_saveexec_b64 s[6:7], s[4:5]
	s_cbranch_execnz .LBB3_79
	s_branch .LBB3_80
.LBB3_337:
	s_movk_i32 s4, 0x80
	v_cmp_eq_u16_sdwa s[12:13], v7, s4 src0_sel:BYTE_0 src1_sel:DWORD
	s_mov_b64 s[4:5], -1
                                        ; implicit-def: $sgpr10
	s_and_saveexec_b64 s[8:9], s[12:13]
; %bb.338:
	s_mov_b32 s10, 0x7f800001
	s_xor_b64 s[4:5], exec, -1
; %bb.339:
	s_or_b64 exec, exec, s[8:9]
	s_and_b64 s[4:5], s[4:5], exec
	s_or_saveexec_b64 s[6:7], s[6:7]
	v_mov_b32_e32 v6, s10
	s_xor_b64 exec, exec, s[6:7]
	s_cbranch_execz .LBB3_82
.LBB3_340:
	v_mov_b32_e32 v6, 0
	v_cmp_ne_u16_sdwa s[8:9], v7, v6 src0_sel:BYTE_0 src1_sel:DWORD
	s_andn2_b64 s[4:5], s[4:5], exec
	s_and_b64 s[8:9], s[8:9], exec
	s_or_b64 s[4:5], s[4:5], s[8:9]
	s_or_b64 exec, exec, s[6:7]
	s_and_saveexec_b64 s[6:7], s[4:5]
	s_cbranch_execnz .LBB3_83
	s_branch .LBB3_84
.LBB3_341:
	s_movk_i32 s4, 0x80
	v_cmp_eq_u16_sdwa s[12:13], v7, s4 src0_sel:BYTE_1 src1_sel:DWORD
	s_mov_b64 s[4:5], -1
                                        ; implicit-def: $sgpr10
	s_and_saveexec_b64 s[8:9], s[12:13]
; %bb.342:
	s_mov_b32 s10, 0x7f800001
	s_xor_b64 s[4:5], exec, -1
; %bb.343:
	s_or_b64 exec, exec, s[8:9]
	s_and_b64 s[4:5], s[4:5], exec
	s_or_saveexec_b64 s[6:7], s[6:7]
	v_mov_b32_e32 v14, s10
	s_xor_b64 exec, exec, s[6:7]
	s_cbranch_execz .LBB3_86
.LBB3_344:
	v_mov_b32_e32 v14, 0
	v_cmp_ne_u16_sdwa s[8:9], v7, v14 src0_sel:BYTE_1 src1_sel:DWORD
	s_andn2_b64 s[4:5], s[4:5], exec
	s_and_b64 s[8:9], s[8:9], exec
	s_or_b64 s[4:5], s[4:5], s[8:9]
	s_or_b64 exec, exec, s[6:7]
	s_and_saveexec_b64 s[6:7], s[4:5]
	s_cbranch_execnz .LBB3_87
	s_branch .LBB3_88
.LBB3_345:
	s_movk_i32 s4, 0x80
	v_cmp_eq_u16_e32 vcc, s4, v16
	s_mov_b64 s[4:5], -1
                                        ; implicit-def: $sgpr10
	s_and_saveexec_b64 s[8:9], vcc
; %bb.346:
	s_mov_b32 s10, 0x7f800001
	s_xor_b64 s[4:5], exec, -1
; %bb.347:
	s_or_b64 exec, exec, s[8:9]
	s_and_b64 s[4:5], s[4:5], exec
                                        ; implicit-def: $vgpr16
	s_or_saveexec_b64 s[6:7], s[6:7]
	v_mov_b32_e32 v15, s10
	s_xor_b64 exec, exec, s[6:7]
	s_cbranch_execz .LBB3_90
.LBB3_348:
	v_cmp_ne_u16_e32 vcc, 0, v16
	s_andn2_b64 s[4:5], s[4:5], exec
	s_and_b64 s[8:9], vcc, exec
	v_mov_b32_e32 v15, 0
	s_or_b64 s[4:5], s[4:5], s[8:9]
	s_or_b64 exec, exec, s[6:7]
	s_and_saveexec_b64 s[6:7], s[4:5]
	s_cbranch_execnz .LBB3_91
	s_branch .LBB3_92
.LBB3_349:
	s_movk_i32 s4, 0x80
	v_cmp_eq_u16_e32 vcc, s4, v17
	s_mov_b64 s[4:5], -1
                                        ; implicit-def: $sgpr10
	s_and_saveexec_b64 s[8:9], vcc
; %bb.350:
	s_mov_b32 s10, 0x7f800001
	s_xor_b64 s[4:5], exec, -1
; %bb.351:
	s_or_b64 exec, exec, s[8:9]
	s_and_b64 s[4:5], s[4:5], exec
                                        ; implicit-def: $vgpr17
	s_or_saveexec_b64 s[6:7], s[6:7]
	v_mov_b32_e32 v16, s10
	s_xor_b64 exec, exec, s[6:7]
	s_cbranch_execz .LBB3_94
.LBB3_352:
	v_cmp_ne_u16_e32 vcc, 0, v17
	s_andn2_b64 s[4:5], s[4:5], exec
	s_and_b64 s[8:9], vcc, exec
	v_mov_b32_e32 v16, 0
	s_or_b64 s[4:5], s[4:5], s[8:9]
	s_or_b64 exec, exec, s[6:7]
	s_and_saveexec_b64 s[6:7], s[4:5]
	s_cbranch_execnz .LBB3_95
	s_branch .LBB3_96
.LBB3_353:
	s_movk_i32 s4, 0x80
	v_cmp_eq_u16_sdwa s[12:13], v8, s4 src0_sel:BYTE_0 src1_sel:DWORD
	s_mov_b64 s[4:5], -1
                                        ; implicit-def: $sgpr10
	s_and_saveexec_b64 s[8:9], s[12:13]
; %bb.354:
	s_mov_b32 s10, 0x7f800001
	s_xor_b64 s[4:5], exec, -1
; %bb.355:
	s_or_b64 exec, exec, s[8:9]
	s_and_b64 s[4:5], s[4:5], exec
	s_or_saveexec_b64 s[6:7], s[6:7]
	v_mov_b32_e32 v7, s10
	s_xor_b64 exec, exec, s[6:7]
	s_cbranch_execz .LBB3_98
.LBB3_356:
	v_mov_b32_e32 v7, 0
	v_cmp_ne_u16_sdwa s[8:9], v8, v7 src0_sel:BYTE_0 src1_sel:DWORD
	s_andn2_b64 s[4:5], s[4:5], exec
	s_and_b64 s[8:9], s[8:9], exec
	s_or_b64 s[4:5], s[4:5], s[8:9]
	s_or_b64 exec, exec, s[6:7]
	s_and_saveexec_b64 s[6:7], s[4:5]
	s_cbranch_execnz .LBB3_99
	s_branch .LBB3_100
.LBB3_357:
	s_movk_i32 s4, 0x80
	v_cmp_eq_u16_sdwa s[12:13], v8, s4 src0_sel:BYTE_1 src1_sel:DWORD
	s_mov_b64 s[4:5], -1
                                        ; implicit-def: $sgpr10
	s_and_saveexec_b64 s[8:9], s[12:13]
; %bb.358:
	s_mov_b32 s10, 0x7f800001
	s_xor_b64 s[4:5], exec, -1
; %bb.359:
	s_or_b64 exec, exec, s[8:9]
	s_and_b64 s[4:5], s[4:5], exec
	s_or_saveexec_b64 s[6:7], s[6:7]
	v_mov_b32_e32 v17, s10
	s_xor_b64 exec, exec, s[6:7]
	s_cbranch_execz .LBB3_102
.LBB3_360:
	v_mov_b32_e32 v17, 0
	v_cmp_ne_u16_sdwa s[8:9], v8, v17 src0_sel:BYTE_1 src1_sel:DWORD
	s_andn2_b64 s[4:5], s[4:5], exec
	s_and_b64 s[8:9], s[8:9], exec
	s_or_b64 s[4:5], s[4:5], s[8:9]
	s_or_b64 exec, exec, s[6:7]
	s_and_saveexec_b64 s[6:7], s[4:5]
	s_cbranch_execnz .LBB3_103
	s_branch .LBB3_104
.LBB3_361:
	s_movk_i32 s4, 0x80
	v_cmp_eq_u16_e32 vcc, s4, v19
	s_mov_b64 s[4:5], -1
                                        ; implicit-def: $sgpr10
	s_and_saveexec_b64 s[8:9], vcc
; %bb.362:
	s_mov_b32 s10, 0x7f800001
	s_xor_b64 s[4:5], exec, -1
; %bb.363:
	s_or_b64 exec, exec, s[8:9]
	s_and_b64 s[4:5], s[4:5], exec
                                        ; implicit-def: $vgpr19
	s_or_saveexec_b64 s[6:7], s[6:7]
	v_mov_b32_e32 v18, s10
	s_xor_b64 exec, exec, s[6:7]
	s_cbranch_execz .LBB3_106
.LBB3_364:
	v_cmp_ne_u16_e32 vcc, 0, v19
	s_andn2_b64 s[4:5], s[4:5], exec
	s_and_b64 s[8:9], vcc, exec
	v_mov_b32_e32 v18, 0
	s_or_b64 s[4:5], s[4:5], s[8:9]
	s_or_b64 exec, exec, s[6:7]
	s_and_saveexec_b64 s[6:7], s[4:5]
	s_cbranch_execnz .LBB3_107
	s_branch .LBB3_108
.LBB3_365:
	s_movk_i32 s4, 0x80
	v_cmp_eq_u16_e32 vcc, s4, v20
	s_mov_b64 s[4:5], -1
                                        ; implicit-def: $sgpr10
	s_and_saveexec_b64 s[8:9], vcc
; %bb.366:
	s_mov_b32 s10, 0x7f800001
	s_xor_b64 s[4:5], exec, -1
; %bb.367:
	s_or_b64 exec, exec, s[8:9]
	s_and_b64 s[4:5], s[4:5], exec
                                        ; implicit-def: $vgpr20
	s_or_saveexec_b64 s[6:7], s[6:7]
	v_mov_b32_e32 v19, s10
	s_xor_b64 exec, exec, s[6:7]
	s_cbranch_execz .LBB3_110
.LBB3_368:
	v_cmp_ne_u16_e32 vcc, 0, v20
	s_andn2_b64 s[4:5], s[4:5], exec
	s_and_b64 s[8:9], vcc, exec
	v_mov_b32_e32 v19, 0
	s_or_b64 s[4:5], s[4:5], s[8:9]
	s_or_b64 exec, exec, s[6:7]
	s_and_saveexec_b64 s[6:7], s[4:5]
	s_cbranch_execnz .LBB3_111
	s_branch .LBB3_112
.LBB3_369:
	s_movk_i32 s4, 0x80
	v_cmp_eq_u16_sdwa s[12:13], v9, s4 src0_sel:BYTE_0 src1_sel:DWORD
	s_mov_b64 s[4:5], -1
                                        ; implicit-def: $sgpr10
	s_and_saveexec_b64 s[8:9], s[12:13]
; %bb.370:
	s_mov_b32 s10, 0x7f800001
	s_xor_b64 s[4:5], exec, -1
; %bb.371:
	s_or_b64 exec, exec, s[8:9]
	s_and_b64 s[4:5], s[4:5], exec
	s_or_saveexec_b64 s[6:7], s[6:7]
	v_mov_b32_e32 v8, s10
	s_xor_b64 exec, exec, s[6:7]
	s_cbranch_execz .LBB3_114
.LBB3_372:
	v_mov_b32_e32 v8, 0
	v_cmp_ne_u16_sdwa s[8:9], v9, v8 src0_sel:BYTE_0 src1_sel:DWORD
	s_andn2_b64 s[4:5], s[4:5], exec
	s_and_b64 s[8:9], s[8:9], exec
	s_or_b64 s[4:5], s[4:5], s[8:9]
	s_or_b64 exec, exec, s[6:7]
	s_and_saveexec_b64 s[6:7], s[4:5]
	s_cbranch_execnz .LBB3_115
	s_branch .LBB3_116
.LBB3_373:
	s_movk_i32 s4, 0x80
	v_cmp_eq_u16_sdwa s[12:13], v9, s4 src0_sel:BYTE_1 src1_sel:DWORD
	s_mov_b64 s[4:5], -1
                                        ; implicit-def: $sgpr10
	s_and_saveexec_b64 s[8:9], s[12:13]
; %bb.374:
	s_mov_b32 s10, 0x7f800001
	s_xor_b64 s[4:5], exec, -1
; %bb.375:
	s_or_b64 exec, exec, s[8:9]
	s_and_b64 s[4:5], s[4:5], exec
	s_or_saveexec_b64 s[6:7], s[6:7]
	v_mov_b32_e32 v20, s10
	s_xor_b64 exec, exec, s[6:7]
	s_cbranch_execz .LBB3_118
.LBB3_376:
	v_mov_b32_e32 v20, 0
	v_cmp_ne_u16_sdwa s[8:9], v9, v20 src0_sel:BYTE_1 src1_sel:DWORD
	s_andn2_b64 s[4:5], s[4:5], exec
	s_and_b64 s[8:9], s[8:9], exec
	s_or_b64 s[4:5], s[4:5], s[8:9]
	s_or_b64 exec, exec, s[6:7]
	s_and_saveexec_b64 s[6:7], s[4:5]
	s_cbranch_execnz .LBB3_119
	s_branch .LBB3_120
.LBB3_377:
	s_movk_i32 s4, 0x80
	v_cmp_eq_u16_e32 vcc, s4, v22
	s_mov_b64 s[4:5], -1
                                        ; implicit-def: $sgpr10
	s_and_saveexec_b64 s[8:9], vcc
; %bb.378:
	s_mov_b32 s10, 0x7f800001
	s_xor_b64 s[4:5], exec, -1
; %bb.379:
	s_or_b64 exec, exec, s[8:9]
	s_and_b64 s[4:5], s[4:5], exec
                                        ; implicit-def: $vgpr22
	s_or_saveexec_b64 s[6:7], s[6:7]
	v_mov_b32_e32 v21, s10
	s_xor_b64 exec, exec, s[6:7]
	s_cbranch_execz .LBB3_122
.LBB3_380:
	v_cmp_ne_u16_e32 vcc, 0, v22
	s_andn2_b64 s[4:5], s[4:5], exec
	s_and_b64 s[8:9], vcc, exec
	v_mov_b32_e32 v21, 0
	s_or_b64 s[4:5], s[4:5], s[8:9]
	s_or_b64 exec, exec, s[6:7]
	s_and_saveexec_b64 s[6:7], s[4:5]
	s_cbranch_execnz .LBB3_123
	s_branch .LBB3_124
.LBB3_381:
	s_movk_i32 s4, 0x80
	v_cmp_eq_u16_e32 vcc, s4, v23
	s_mov_b64 s[4:5], -1
                                        ; implicit-def: $sgpr10
	s_and_saveexec_b64 s[8:9], vcc
; %bb.382:
	s_mov_b32 s10, 0x7f800001
	s_xor_b64 s[4:5], exec, -1
; %bb.383:
	s_or_b64 exec, exec, s[8:9]
	s_and_b64 s[4:5], s[4:5], exec
                                        ; implicit-def: $vgpr23
	s_or_saveexec_b64 s[6:7], s[6:7]
	v_mov_b32_e32 v22, s10
	s_xor_b64 exec, exec, s[6:7]
	s_cbranch_execz .LBB3_126
.LBB3_384:
	v_cmp_ne_u16_e32 vcc, 0, v23
	s_andn2_b64 s[4:5], s[4:5], exec
	s_and_b64 s[8:9], vcc, exec
	v_mov_b32_e32 v22, 0
	s_or_b64 s[4:5], s[4:5], s[8:9]
	s_or_b64 exec, exec, s[6:7]
	s_and_saveexec_b64 s[6:7], s[4:5]
	s_cbranch_execnz .LBB3_127
	s_branch .LBB3_128
.LBB3_385:
	s_movk_i32 s4, 0x80
	v_cmp_eq_u16_sdwa s[12:13], v6, s4 src0_sel:BYTE_0 src1_sel:DWORD
	s_mov_b64 s[4:5], -1
                                        ; implicit-def: $sgpr10
	s_and_saveexec_b64 s[8:9], s[12:13]
; %bb.386:
	s_mov_b32 s10, 0x7f800001
	s_xor_b64 s[4:5], exec, -1
; %bb.387:
	s_or_b64 exec, exec, s[8:9]
	s_and_b64 s[4:5], s[4:5], exec
	s_or_saveexec_b64 s[6:7], s[6:7]
	v_mov_b32_e32 v2, s10
	s_xor_b64 exec, exec, s[6:7]
	s_cbranch_execz .LBB3_130
.LBB3_388:
	v_mov_b32_e32 v2, 0
	v_cmp_ne_u16_sdwa s[8:9], v6, v2 src0_sel:BYTE_0 src1_sel:DWORD
	s_andn2_b64 s[4:5], s[4:5], exec
	s_and_b64 s[8:9], s[8:9], exec
	s_or_b64 s[4:5], s[4:5], s[8:9]
	s_or_b64 exec, exec, s[6:7]
	s_and_saveexec_b64 s[6:7], s[4:5]
	s_cbranch_execnz .LBB3_131
	s_branch .LBB3_132
.LBB3_389:
	s_movk_i32 s4, 0x80
	v_cmp_eq_u16_sdwa s[12:13], v6, s4 src0_sel:BYTE_1 src1_sel:DWORD
	s_mov_b64 s[4:5], -1
                                        ; implicit-def: $sgpr10
	s_and_saveexec_b64 s[8:9], s[12:13]
; %bb.390:
	s_mov_b32 s10, 0x7f800001
	s_xor_b64 s[4:5], exec, -1
; %bb.391:
	s_or_b64 exec, exec, s[8:9]
	s_and_b64 s[4:5], s[4:5], exec
	s_or_saveexec_b64 s[6:7], s[6:7]
	v_mov_b32_e32 v3, s10
	s_xor_b64 exec, exec, s[6:7]
	s_cbranch_execz .LBB3_134
.LBB3_392:
	v_mov_b32_e32 v3, 0
	v_cmp_ne_u16_sdwa s[8:9], v6, v3 src0_sel:BYTE_1 src1_sel:DWORD
	s_andn2_b64 s[4:5], s[4:5], exec
	s_and_b64 s[8:9], s[8:9], exec
	s_or_b64 s[4:5], s[4:5], s[8:9]
	s_or_b64 exec, exec, s[6:7]
	s_and_saveexec_b64 s[6:7], s[4:5]
	s_cbranch_execnz .LBB3_135
	s_branch .LBB3_136
.LBB3_393:
	s_movk_i32 s4, 0x80
	v_cmp_eq_u16_e32 vcc, s4, v13
	s_mov_b64 s[4:5], -1
                                        ; implicit-def: $sgpr10
	s_and_saveexec_b64 s[8:9], vcc
; %bb.394:
	s_mov_b32 s10, 0x7f800001
	s_xor_b64 s[4:5], exec, -1
; %bb.395:
	s_or_b64 exec, exec, s[8:9]
	s_and_b64 s[4:5], s[4:5], exec
                                        ; implicit-def: $vgpr13
	s_or_saveexec_b64 s[6:7], s[6:7]
	v_mov_b32_e32 v12, s10
	s_xor_b64 exec, exec, s[6:7]
	s_cbranch_execz .LBB3_138
.LBB3_396:
	v_cmp_ne_u16_e32 vcc, 0, v13
	s_andn2_b64 s[4:5], s[4:5], exec
	s_and_b64 s[8:9], vcc, exec
	v_mov_b32_e32 v12, 0
	s_or_b64 s[4:5], s[4:5], s[8:9]
	s_or_b64 exec, exec, s[6:7]
	s_and_saveexec_b64 s[6:7], s[4:5]
	s_cbranch_execnz .LBB3_139
	s_branch .LBB3_140
.LBB3_397:
	s_movk_i32 s4, 0x80
	v_cmp_eq_u16_e32 vcc, s4, v14
	s_mov_b64 s[4:5], -1
                                        ; implicit-def: $sgpr10
	s_and_saveexec_b64 s[8:9], vcc
; %bb.398:
	s_mov_b32 s10, 0x7f800001
	s_xor_b64 s[4:5], exec, -1
; %bb.399:
	s_or_b64 exec, exec, s[8:9]
	s_and_b64 s[4:5], s[4:5], exec
                                        ; implicit-def: $vgpr14
	s_or_saveexec_b64 s[6:7], s[6:7]
	v_mov_b32_e32 v13, s10
	s_xor_b64 exec, exec, s[6:7]
	s_cbranch_execz .LBB3_142
.LBB3_400:
	v_cmp_ne_u16_e32 vcc, 0, v14
	s_andn2_b64 s[4:5], s[4:5], exec
	s_and_b64 s[8:9], vcc, exec
	v_mov_b32_e32 v13, 0
	s_or_b64 s[4:5], s[4:5], s[8:9]
	s_or_b64 exec, exec, s[6:7]
	s_and_saveexec_b64 s[6:7], s[4:5]
	s_cbranch_execnz .LBB3_143
	s_branch .LBB3_144
.LBB3_401:
	s_movk_i32 s4, 0x80
	v_cmp_eq_u16_sdwa s[12:13], v7, s4 src0_sel:BYTE_0 src1_sel:DWORD
	s_mov_b64 s[4:5], -1
                                        ; implicit-def: $sgpr10
	s_and_saveexec_b64 s[8:9], s[12:13]
; %bb.402:
	s_mov_b32 s10, 0x7f800001
	s_xor_b64 s[4:5], exec, -1
; %bb.403:
	s_or_b64 exec, exec, s[8:9]
	s_and_b64 s[4:5], s[4:5], exec
	s_or_saveexec_b64 s[6:7], s[6:7]
	v_mov_b32_e32 v6, s10
	s_xor_b64 exec, exec, s[6:7]
	s_cbranch_execz .LBB3_146
.LBB3_404:
	v_mov_b32_e32 v6, 0
	v_cmp_ne_u16_sdwa s[8:9], v7, v6 src0_sel:BYTE_0 src1_sel:DWORD
	s_andn2_b64 s[4:5], s[4:5], exec
	s_and_b64 s[8:9], s[8:9], exec
	s_or_b64 s[4:5], s[4:5], s[8:9]
	s_or_b64 exec, exec, s[6:7]
	s_and_saveexec_b64 s[6:7], s[4:5]
	s_cbranch_execnz .LBB3_147
	s_branch .LBB3_148
.LBB3_405:
	s_movk_i32 s4, 0x80
	v_cmp_eq_u16_sdwa s[12:13], v7, s4 src0_sel:BYTE_1 src1_sel:DWORD
	s_mov_b64 s[4:5], -1
                                        ; implicit-def: $sgpr10
	s_and_saveexec_b64 s[8:9], s[12:13]
; %bb.406:
	s_mov_b32 s10, 0x7f800001
	s_xor_b64 s[4:5], exec, -1
; %bb.407:
	s_or_b64 exec, exec, s[8:9]
	s_and_b64 s[4:5], s[4:5], exec
	s_or_saveexec_b64 s[6:7], s[6:7]
	v_mov_b32_e32 v14, s10
	s_xor_b64 exec, exec, s[6:7]
	s_cbranch_execz .LBB3_150
.LBB3_408:
	v_mov_b32_e32 v14, 0
	v_cmp_ne_u16_sdwa s[8:9], v7, v14 src0_sel:BYTE_1 src1_sel:DWORD
	s_andn2_b64 s[4:5], s[4:5], exec
	s_and_b64 s[8:9], s[8:9], exec
	s_or_b64 s[4:5], s[4:5], s[8:9]
	s_or_b64 exec, exec, s[6:7]
	s_and_saveexec_b64 s[6:7], s[4:5]
	s_cbranch_execnz .LBB3_151
	s_branch .LBB3_152
.LBB3_409:
	s_movk_i32 s4, 0x80
	v_cmp_eq_u16_e32 vcc, s4, v16
	s_mov_b64 s[4:5], -1
                                        ; implicit-def: $sgpr10
	s_and_saveexec_b64 s[8:9], vcc
; %bb.410:
	s_mov_b32 s10, 0x7f800001
	s_xor_b64 s[4:5], exec, -1
; %bb.411:
	s_or_b64 exec, exec, s[8:9]
	s_and_b64 s[4:5], s[4:5], exec
                                        ; implicit-def: $vgpr16
	s_or_saveexec_b64 s[6:7], s[6:7]
	v_mov_b32_e32 v15, s10
	s_xor_b64 exec, exec, s[6:7]
	s_cbranch_execz .LBB3_154
.LBB3_412:
	v_cmp_ne_u16_e32 vcc, 0, v16
	s_andn2_b64 s[4:5], s[4:5], exec
	s_and_b64 s[8:9], vcc, exec
	v_mov_b32_e32 v15, 0
	s_or_b64 s[4:5], s[4:5], s[8:9]
	s_or_b64 exec, exec, s[6:7]
	s_and_saveexec_b64 s[6:7], s[4:5]
	s_cbranch_execnz .LBB3_155
	s_branch .LBB3_156
.LBB3_413:
	s_movk_i32 s4, 0x80
	v_cmp_eq_u16_e32 vcc, s4, v17
	s_mov_b64 s[4:5], -1
                                        ; implicit-def: $sgpr10
	s_and_saveexec_b64 s[8:9], vcc
; %bb.414:
	s_mov_b32 s10, 0x7f800001
	s_xor_b64 s[4:5], exec, -1
; %bb.415:
	s_or_b64 exec, exec, s[8:9]
	s_and_b64 s[4:5], s[4:5], exec
                                        ; implicit-def: $vgpr17
	s_or_saveexec_b64 s[6:7], s[6:7]
	v_mov_b32_e32 v16, s10
	s_xor_b64 exec, exec, s[6:7]
	s_cbranch_execz .LBB3_158
.LBB3_416:
	v_cmp_ne_u16_e32 vcc, 0, v17
	s_andn2_b64 s[4:5], s[4:5], exec
	s_and_b64 s[8:9], vcc, exec
	v_mov_b32_e32 v16, 0
	s_or_b64 s[4:5], s[4:5], s[8:9]
	s_or_b64 exec, exec, s[6:7]
	s_and_saveexec_b64 s[6:7], s[4:5]
	s_cbranch_execnz .LBB3_159
	s_branch .LBB3_160
.LBB3_417:
	s_movk_i32 s4, 0x80
	v_cmp_eq_u16_sdwa s[12:13], v8, s4 src0_sel:BYTE_0 src1_sel:DWORD
	s_mov_b64 s[4:5], -1
                                        ; implicit-def: $sgpr10
	s_and_saveexec_b64 s[8:9], s[12:13]
; %bb.418:
	s_mov_b32 s10, 0x7f800001
	s_xor_b64 s[4:5], exec, -1
; %bb.419:
	s_or_b64 exec, exec, s[8:9]
	s_and_b64 s[4:5], s[4:5], exec
	s_or_saveexec_b64 s[6:7], s[6:7]
	v_mov_b32_e32 v7, s10
	s_xor_b64 exec, exec, s[6:7]
	s_cbranch_execz .LBB3_162
.LBB3_420:
	v_mov_b32_e32 v7, 0
	v_cmp_ne_u16_sdwa s[8:9], v8, v7 src0_sel:BYTE_0 src1_sel:DWORD
	s_andn2_b64 s[4:5], s[4:5], exec
	s_and_b64 s[8:9], s[8:9], exec
	s_or_b64 s[4:5], s[4:5], s[8:9]
	s_or_b64 exec, exec, s[6:7]
	s_and_saveexec_b64 s[6:7], s[4:5]
	s_cbranch_execnz .LBB3_163
	s_branch .LBB3_164
.LBB3_421:
	s_movk_i32 s4, 0x80
	v_cmp_eq_u16_sdwa s[12:13], v8, s4 src0_sel:BYTE_1 src1_sel:DWORD
	s_mov_b64 s[4:5], -1
                                        ; implicit-def: $sgpr10
	s_and_saveexec_b64 s[8:9], s[12:13]
; %bb.422:
	s_mov_b32 s10, 0x7f800001
	s_xor_b64 s[4:5], exec, -1
; %bb.423:
	s_or_b64 exec, exec, s[8:9]
	s_and_b64 s[4:5], s[4:5], exec
	s_or_saveexec_b64 s[6:7], s[6:7]
	v_mov_b32_e32 v17, s10
	s_xor_b64 exec, exec, s[6:7]
	s_cbranch_execz .LBB3_166
.LBB3_424:
	v_mov_b32_e32 v17, 0
	v_cmp_ne_u16_sdwa s[8:9], v8, v17 src0_sel:BYTE_1 src1_sel:DWORD
	s_andn2_b64 s[4:5], s[4:5], exec
	s_and_b64 s[8:9], s[8:9], exec
	s_or_b64 s[4:5], s[4:5], s[8:9]
	s_or_b64 exec, exec, s[6:7]
	s_and_saveexec_b64 s[6:7], s[4:5]
	s_cbranch_execnz .LBB3_167
	s_branch .LBB3_168
.LBB3_425:
	s_movk_i32 s4, 0x80
	v_cmp_eq_u16_e32 vcc, s4, v19
	s_mov_b64 s[4:5], -1
                                        ; implicit-def: $sgpr10
	s_and_saveexec_b64 s[8:9], vcc
; %bb.426:
	s_mov_b32 s10, 0x7f800001
	s_xor_b64 s[4:5], exec, -1
; %bb.427:
	s_or_b64 exec, exec, s[8:9]
	s_and_b64 s[4:5], s[4:5], exec
                                        ; implicit-def: $vgpr19
	s_or_saveexec_b64 s[6:7], s[6:7]
	v_mov_b32_e32 v18, s10
	s_xor_b64 exec, exec, s[6:7]
	s_cbranch_execz .LBB3_170
.LBB3_428:
	v_cmp_ne_u16_e32 vcc, 0, v19
	s_andn2_b64 s[4:5], s[4:5], exec
	s_and_b64 s[8:9], vcc, exec
	v_mov_b32_e32 v18, 0
	s_or_b64 s[4:5], s[4:5], s[8:9]
	s_or_b64 exec, exec, s[6:7]
	s_and_saveexec_b64 s[6:7], s[4:5]
	s_cbranch_execnz .LBB3_171
	s_branch .LBB3_172
.LBB3_429:
	s_movk_i32 s4, 0x80
	v_cmp_eq_u16_e32 vcc, s4, v20
	s_mov_b64 s[4:5], -1
                                        ; implicit-def: $sgpr10
	s_and_saveexec_b64 s[8:9], vcc
; %bb.430:
	s_mov_b32 s10, 0x7f800001
	s_xor_b64 s[4:5], exec, -1
; %bb.431:
	s_or_b64 exec, exec, s[8:9]
	s_and_b64 s[4:5], s[4:5], exec
                                        ; implicit-def: $vgpr20
	s_or_saveexec_b64 s[6:7], s[6:7]
	v_mov_b32_e32 v19, s10
	s_xor_b64 exec, exec, s[6:7]
	s_cbranch_execz .LBB3_174
.LBB3_432:
	v_cmp_ne_u16_e32 vcc, 0, v20
	s_andn2_b64 s[4:5], s[4:5], exec
	s_and_b64 s[8:9], vcc, exec
	v_mov_b32_e32 v19, 0
	s_or_b64 s[4:5], s[4:5], s[8:9]
	s_or_b64 exec, exec, s[6:7]
	s_and_saveexec_b64 s[6:7], s[4:5]
	s_cbranch_execnz .LBB3_175
	s_branch .LBB3_176
.LBB3_433:
	s_movk_i32 s4, 0x80
	v_cmp_eq_u16_sdwa s[12:13], v9, s4 src0_sel:BYTE_0 src1_sel:DWORD
	s_mov_b64 s[4:5], -1
                                        ; implicit-def: $sgpr10
	s_and_saveexec_b64 s[8:9], s[12:13]
; %bb.434:
	s_mov_b32 s10, 0x7f800001
	s_xor_b64 s[4:5], exec, -1
; %bb.435:
	s_or_b64 exec, exec, s[8:9]
	s_and_b64 s[4:5], s[4:5], exec
	s_or_saveexec_b64 s[6:7], s[6:7]
	v_mov_b32_e32 v8, s10
	s_xor_b64 exec, exec, s[6:7]
	s_cbranch_execz .LBB3_178
.LBB3_436:
	v_mov_b32_e32 v8, 0
	v_cmp_ne_u16_sdwa s[8:9], v9, v8 src0_sel:BYTE_0 src1_sel:DWORD
	s_andn2_b64 s[4:5], s[4:5], exec
	s_and_b64 s[8:9], s[8:9], exec
	s_or_b64 s[4:5], s[4:5], s[8:9]
	s_or_b64 exec, exec, s[6:7]
	s_and_saveexec_b64 s[6:7], s[4:5]
	s_cbranch_execnz .LBB3_179
	s_branch .LBB3_180
.LBB3_437:
	s_movk_i32 s4, 0x80
	v_cmp_eq_u16_sdwa s[12:13], v9, s4 src0_sel:BYTE_1 src1_sel:DWORD
	s_mov_b64 s[4:5], -1
                                        ; implicit-def: $sgpr10
	s_and_saveexec_b64 s[8:9], s[12:13]
; %bb.438:
	s_mov_b32 s10, 0x7f800001
	s_xor_b64 s[4:5], exec, -1
; %bb.439:
	s_or_b64 exec, exec, s[8:9]
	s_and_b64 s[4:5], s[4:5], exec
	s_or_saveexec_b64 s[6:7], s[6:7]
	v_mov_b32_e32 v20, s10
	s_xor_b64 exec, exec, s[6:7]
	s_cbranch_execz .LBB3_182
.LBB3_440:
	v_mov_b32_e32 v20, 0
	v_cmp_ne_u16_sdwa s[8:9], v9, v20 src0_sel:BYTE_1 src1_sel:DWORD
	s_andn2_b64 s[4:5], s[4:5], exec
	s_and_b64 s[8:9], s[8:9], exec
	s_or_b64 s[4:5], s[4:5], s[8:9]
	s_or_b64 exec, exec, s[6:7]
	s_and_saveexec_b64 s[6:7], s[4:5]
	s_cbranch_execnz .LBB3_183
	s_branch .LBB3_184
.LBB3_441:
	s_movk_i32 s4, 0x80
	v_cmp_eq_u16_e32 vcc, s4, v22
	s_mov_b64 s[4:5], -1
                                        ; implicit-def: $sgpr10
	s_and_saveexec_b64 s[8:9], vcc
; %bb.442:
	s_mov_b32 s10, 0x7f800001
	s_xor_b64 s[4:5], exec, -1
; %bb.443:
	s_or_b64 exec, exec, s[8:9]
	s_and_b64 s[4:5], s[4:5], exec
                                        ; implicit-def: $vgpr22
	s_or_saveexec_b64 s[6:7], s[6:7]
	v_mov_b32_e32 v21, s10
	s_xor_b64 exec, exec, s[6:7]
	s_cbranch_execz .LBB3_186
.LBB3_444:
	v_cmp_ne_u16_e32 vcc, 0, v22
	s_andn2_b64 s[4:5], s[4:5], exec
	s_and_b64 s[8:9], vcc, exec
	v_mov_b32_e32 v21, 0
	s_or_b64 s[4:5], s[4:5], s[8:9]
	s_or_b64 exec, exec, s[6:7]
	s_and_saveexec_b64 s[6:7], s[4:5]
	s_cbranch_execnz .LBB3_187
	s_branch .LBB3_188
.LBB3_445:
	s_movk_i32 s4, 0x80
	v_cmp_eq_u16_e32 vcc, s4, v23
	s_mov_b64 s[4:5], -1
                                        ; implicit-def: $sgpr10
	s_and_saveexec_b64 s[8:9], vcc
; %bb.446:
	s_mov_b32 s10, 0x7f800001
	s_xor_b64 s[4:5], exec, -1
; %bb.447:
	s_or_b64 exec, exec, s[8:9]
	s_and_b64 s[4:5], s[4:5], exec
                                        ; implicit-def: $vgpr23
	s_or_saveexec_b64 s[6:7], s[6:7]
	v_mov_b32_e32 v22, s10
	s_xor_b64 exec, exec, s[6:7]
	s_cbranch_execz .LBB3_190
.LBB3_448:
	v_cmp_ne_u16_e32 vcc, 0, v23
	s_andn2_b64 s[4:5], s[4:5], exec
	s_and_b64 s[8:9], vcc, exec
	v_mov_b32_e32 v22, 0
	s_or_b64 s[4:5], s[4:5], s[8:9]
	s_or_b64 exec, exec, s[6:7]
	s_and_saveexec_b64 s[6:7], s[4:5]
	s_cbranch_execnz .LBB3_191
	s_branch .LBB3_192
.LBB3_449:
	s_movk_i32 s4, 0x80
	v_cmp_eq_u16_sdwa s[12:13], v0, s4 src0_sel:BYTE_0 src1_sel:DWORD
	s_mov_b64 s[4:5], -1
                                        ; implicit-def: $sgpr10
	s_and_saveexec_b64 s[8:9], s[12:13]
; %bb.450:
	s_mov_b32 s10, 0x7f800001
	s_xor_b64 s[4:5], exec, -1
; %bb.451:
	s_or_b64 exec, exec, s[8:9]
	s_and_b64 s[4:5], s[4:5], exec
	s_or_saveexec_b64 s[6:7], s[6:7]
	v_mov_b32_e32 v6, s10
	s_xor_b64 exec, exec, s[6:7]
	s_cbranch_execz .LBB3_194
.LBB3_452:
	v_mov_b32_e32 v6, 0
	v_cmp_ne_u16_sdwa s[8:9], v0, v6 src0_sel:BYTE_0 src1_sel:DWORD
	s_andn2_b64 s[4:5], s[4:5], exec
	s_and_b64 s[8:9], s[8:9], exec
	s_or_b64 s[4:5], s[4:5], s[8:9]
	s_or_b64 exec, exec, s[6:7]
	s_and_saveexec_b64 s[6:7], s[4:5]
	s_cbranch_execnz .LBB3_195
	s_branch .LBB3_196
.LBB3_453:
	s_movk_i32 s4, 0x80
	v_cmp_eq_u16_sdwa s[12:13], v0, s4 src0_sel:BYTE_1 src1_sel:DWORD
	s_mov_b64 s[4:5], -1
                                        ; implicit-def: $sgpr10
	s_and_saveexec_b64 s[8:9], s[12:13]
; %bb.454:
	s_mov_b32 s10, 0x7f800001
	s_xor_b64 s[4:5], exec, -1
; %bb.455:
	s_or_b64 exec, exec, s[8:9]
	s_and_b64 s[4:5], s[4:5], exec
	s_or_saveexec_b64 s[6:7], s[6:7]
	v_mov_b32_e32 v7, s10
	s_xor_b64 exec, exec, s[6:7]
	s_cbranch_execz .LBB3_198
.LBB3_456:
	v_mov_b32_e32 v7, 0
	v_cmp_ne_u16_sdwa s[8:9], v0, v7 src0_sel:BYTE_1 src1_sel:DWORD
	s_andn2_b64 s[4:5], s[4:5], exec
	s_and_b64 s[8:9], s[8:9], exec
	s_or_b64 s[4:5], s[4:5], s[8:9]
	s_or_b64 exec, exec, s[6:7]
	s_and_saveexec_b64 s[6:7], s[4:5]
	s_cbranch_execnz .LBB3_199
	s_branch .LBB3_200
.LBB3_457:
	s_movk_i32 s4, 0x80
	v_cmp_eq_u16_e32 vcc, s4, v9
	s_mov_b64 s[4:5], -1
                                        ; implicit-def: $sgpr10
	s_and_saveexec_b64 s[8:9], vcc
; %bb.458:
	s_mov_b32 s10, 0x7f800001
	s_xor_b64 s[4:5], exec, -1
; %bb.459:
	s_or_b64 exec, exec, s[8:9]
	s_and_b64 s[4:5], s[4:5], exec
                                        ; implicit-def: $vgpr9
	s_or_saveexec_b64 s[6:7], s[6:7]
	v_mov_b32_e32 v8, s10
	s_xor_b64 exec, exec, s[6:7]
	s_cbranch_execz .LBB3_202
.LBB3_460:
	v_cmp_ne_u16_e32 vcc, 0, v9
	s_andn2_b64 s[4:5], s[4:5], exec
	s_and_b64 s[8:9], vcc, exec
	v_mov_b32_e32 v8, 0
	s_or_b64 s[4:5], s[4:5], s[8:9]
	s_or_b64 exec, exec, s[6:7]
	s_and_saveexec_b64 s[6:7], s[4:5]
	s_cbranch_execnz .LBB3_203
	s_branch .LBB3_204
.LBB3_461:
	s_movk_i32 s4, 0x80
	v_cmp_eq_u16_e32 vcc, s4, v10
	s_mov_b64 s[4:5], -1
                                        ; implicit-def: $sgpr10
	s_and_saveexec_b64 s[8:9], vcc
; %bb.462:
	s_mov_b32 s10, 0x7f800001
	s_xor_b64 s[4:5], exec, -1
; %bb.463:
	s_or_b64 exec, exec, s[8:9]
	s_and_b64 s[4:5], s[4:5], exec
                                        ; implicit-def: $vgpr10
	s_or_saveexec_b64 s[6:7], s[6:7]
	v_mov_b32_e32 v9, s10
	s_xor_b64 exec, exec, s[6:7]
	s_cbranch_execz .LBB3_206
.LBB3_464:
	v_cmp_ne_u16_e32 vcc, 0, v10
	s_andn2_b64 s[4:5], s[4:5], exec
	s_and_b64 s[8:9], vcc, exec
	v_mov_b32_e32 v9, 0
	s_or_b64 s[4:5], s[4:5], s[8:9]
	s_or_b64 exec, exec, s[6:7]
	s_and_saveexec_b64 s[6:7], s[4:5]
	s_cbranch_execnz .LBB3_207
	s_branch .LBB3_208
.LBB3_465:
	s_movk_i32 s4, 0x80
	v_cmp_eq_u16_sdwa s[12:13], v1, s4 src0_sel:BYTE_0 src1_sel:DWORD
	s_mov_b64 s[4:5], -1
                                        ; implicit-def: $sgpr10
	s_and_saveexec_b64 s[8:9], s[12:13]
; %bb.466:
	s_mov_b32 s10, 0x7f800001
	s_xor_b64 s[4:5], exec, -1
; %bb.467:
	s_or_b64 exec, exec, s[8:9]
	s_and_b64 s[4:5], s[4:5], exec
	s_or_saveexec_b64 s[6:7], s[6:7]
	v_mov_b32_e32 v0, s10
	s_xor_b64 exec, exec, s[6:7]
	s_cbranch_execz .LBB3_210
.LBB3_468:
	v_mov_b32_e32 v0, 0
	v_cmp_ne_u16_sdwa s[8:9], v1, v0 src0_sel:BYTE_0 src1_sel:DWORD
	s_andn2_b64 s[4:5], s[4:5], exec
	s_and_b64 s[8:9], s[8:9], exec
	s_or_b64 s[4:5], s[4:5], s[8:9]
	s_or_b64 exec, exec, s[6:7]
	s_and_saveexec_b64 s[6:7], s[4:5]
	s_cbranch_execnz .LBB3_211
	s_branch .LBB3_212
.LBB3_469:
	s_movk_i32 s4, 0x80
	v_cmp_eq_u16_sdwa s[12:13], v1, s4 src0_sel:BYTE_1 src1_sel:DWORD
	s_mov_b64 s[4:5], -1
                                        ; implicit-def: $sgpr10
	s_and_saveexec_b64 s[8:9], s[12:13]
; %bb.470:
	s_mov_b32 s10, 0x7f800001
	s_xor_b64 s[4:5], exec, -1
; %bb.471:
	s_or_b64 exec, exec, s[8:9]
	s_and_b64 s[4:5], s[4:5], exec
	s_or_saveexec_b64 s[6:7], s[6:7]
	v_mov_b32_e32 v10, s10
	s_xor_b64 exec, exec, s[6:7]
	s_cbranch_execz .LBB3_214
.LBB3_472:
	v_mov_b32_e32 v10, 0
	v_cmp_ne_u16_sdwa s[8:9], v1, v10 src0_sel:BYTE_1 src1_sel:DWORD
	s_andn2_b64 s[4:5], s[4:5], exec
	s_and_b64 s[8:9], s[8:9], exec
	s_or_b64 s[4:5], s[4:5], s[8:9]
	s_or_b64 exec, exec, s[6:7]
	s_and_saveexec_b64 s[6:7], s[4:5]
	s_cbranch_execnz .LBB3_215
	s_branch .LBB3_216
.LBB3_473:
	s_movk_i32 s4, 0x80
	v_cmp_eq_u16_e32 vcc, s4, v12
	s_mov_b64 s[4:5], -1
                                        ; implicit-def: $sgpr10
	s_and_saveexec_b64 s[8:9], vcc
; %bb.474:
	s_mov_b32 s10, 0x7f800001
	s_xor_b64 s[4:5], exec, -1
; %bb.475:
	s_or_b64 exec, exec, s[8:9]
	s_and_b64 s[4:5], s[4:5], exec
                                        ; implicit-def: $vgpr12
	s_or_saveexec_b64 s[6:7], s[6:7]
	v_mov_b32_e32 v11, s10
	s_xor_b64 exec, exec, s[6:7]
	s_cbranch_execz .LBB3_218
.LBB3_476:
	v_cmp_ne_u16_e32 vcc, 0, v12
	s_andn2_b64 s[4:5], s[4:5], exec
	s_and_b64 s[8:9], vcc, exec
	v_mov_b32_e32 v11, 0
	s_or_b64 s[4:5], s[4:5], s[8:9]
	s_or_b64 exec, exec, s[6:7]
	s_and_saveexec_b64 s[6:7], s[4:5]
	s_cbranch_execnz .LBB3_219
	s_branch .LBB3_220
.LBB3_477:
	s_movk_i32 s4, 0x80
	v_cmp_eq_u16_e32 vcc, s4, v13
	s_mov_b64 s[4:5], -1
                                        ; implicit-def: $sgpr10
	s_and_saveexec_b64 s[8:9], vcc
; %bb.478:
	s_mov_b32 s10, 0x7f800001
	s_xor_b64 s[4:5], exec, -1
; %bb.479:
	s_or_b64 exec, exec, s[8:9]
	s_and_b64 s[4:5], s[4:5], exec
                                        ; implicit-def: $vgpr13
	s_or_saveexec_b64 s[6:7], s[6:7]
	v_mov_b32_e32 v12, s10
	s_xor_b64 exec, exec, s[6:7]
	s_cbranch_execz .LBB3_222
.LBB3_480:
	v_cmp_ne_u16_e32 vcc, 0, v13
	s_andn2_b64 s[4:5], s[4:5], exec
	s_and_b64 s[8:9], vcc, exec
	v_mov_b32_e32 v12, 0
	s_or_b64 s[4:5], s[4:5], s[8:9]
	s_or_b64 exec, exec, s[6:7]
	s_and_saveexec_b64 s[6:7], s[4:5]
	s_cbranch_execnz .LBB3_223
	s_branch .LBB3_224
.LBB3_481:
	s_movk_i32 s4, 0x80
	v_cmp_eq_u16_sdwa s[12:13], v2, s4 src0_sel:BYTE_0 src1_sel:DWORD
	s_mov_b64 s[4:5], -1
                                        ; implicit-def: $sgpr10
	s_and_saveexec_b64 s[8:9], s[12:13]
; %bb.482:
	s_mov_b32 s10, 0x7f800001
	s_xor_b64 s[4:5], exec, -1
; %bb.483:
	s_or_b64 exec, exec, s[8:9]
	s_and_b64 s[4:5], s[4:5], exec
	s_or_saveexec_b64 s[6:7], s[6:7]
	v_mov_b32_e32 v1, s10
	s_xor_b64 exec, exec, s[6:7]
	s_cbranch_execz .LBB3_226
.LBB3_484:
	v_mov_b32_e32 v1, 0
	v_cmp_ne_u16_sdwa s[8:9], v2, v1 src0_sel:BYTE_0 src1_sel:DWORD
	s_andn2_b64 s[4:5], s[4:5], exec
	s_and_b64 s[8:9], s[8:9], exec
	s_or_b64 s[4:5], s[4:5], s[8:9]
	s_or_b64 exec, exec, s[6:7]
	s_and_saveexec_b64 s[6:7], s[4:5]
	s_cbranch_execnz .LBB3_227
	s_branch .LBB3_228
.LBB3_485:
	s_movk_i32 s4, 0x80
	v_cmp_eq_u16_sdwa s[12:13], v2, s4 src0_sel:BYTE_1 src1_sel:DWORD
	s_mov_b64 s[4:5], -1
                                        ; implicit-def: $sgpr10
	s_and_saveexec_b64 s[8:9], s[12:13]
; %bb.486:
	s_mov_b32 s10, 0x7f800001
	s_xor_b64 s[4:5], exec, -1
; %bb.487:
	s_or_b64 exec, exec, s[8:9]
	s_and_b64 s[4:5], s[4:5], exec
	s_or_saveexec_b64 s[6:7], s[6:7]
	v_mov_b32_e32 v13, s10
	s_xor_b64 exec, exec, s[6:7]
	s_cbranch_execz .LBB3_230
.LBB3_488:
	v_mov_b32_e32 v13, 0
	v_cmp_ne_u16_sdwa s[8:9], v2, v13 src0_sel:BYTE_1 src1_sel:DWORD
	s_andn2_b64 s[4:5], s[4:5], exec
	s_and_b64 s[8:9], s[8:9], exec
	s_or_b64 s[4:5], s[4:5], s[8:9]
	s_or_b64 exec, exec, s[6:7]
	s_and_saveexec_b64 s[6:7], s[4:5]
	s_cbranch_execnz .LBB3_231
	s_branch .LBB3_232
.LBB3_489:
	s_movk_i32 s4, 0x80
	v_cmp_eq_u16_e32 vcc, s4, v15
	s_mov_b64 s[4:5], -1
                                        ; implicit-def: $sgpr10
	s_and_saveexec_b64 s[8:9], vcc
; %bb.490:
	s_mov_b32 s10, 0x7f800001
	s_xor_b64 s[4:5], exec, -1
; %bb.491:
	s_or_b64 exec, exec, s[8:9]
	s_and_b64 s[4:5], s[4:5], exec
                                        ; implicit-def: $vgpr15
	s_or_saveexec_b64 s[6:7], s[6:7]
	v_mov_b32_e32 v14, s10
	s_xor_b64 exec, exec, s[6:7]
	s_cbranch_execz .LBB3_234
.LBB3_492:
	v_cmp_ne_u16_e32 vcc, 0, v15
	s_andn2_b64 s[4:5], s[4:5], exec
	s_and_b64 s[8:9], vcc, exec
	v_mov_b32_e32 v14, 0
	s_or_b64 s[4:5], s[4:5], s[8:9]
	s_or_b64 exec, exec, s[6:7]
	s_and_saveexec_b64 s[6:7], s[4:5]
	s_cbranch_execnz .LBB3_235
	s_branch .LBB3_236
.LBB3_493:
	s_movk_i32 s4, 0x80
	v_cmp_eq_u16_e32 vcc, s4, v16
	s_mov_b64 s[4:5], -1
                                        ; implicit-def: $sgpr10
	s_and_saveexec_b64 s[8:9], vcc
; %bb.494:
	s_mov_b32 s10, 0x7f800001
	s_xor_b64 s[4:5], exec, -1
; %bb.495:
	s_or_b64 exec, exec, s[8:9]
	s_and_b64 s[4:5], s[4:5], exec
                                        ; implicit-def: $vgpr16
	s_or_saveexec_b64 s[6:7], s[6:7]
	v_mov_b32_e32 v15, s10
	s_xor_b64 exec, exec, s[6:7]
	s_cbranch_execz .LBB3_238
.LBB3_496:
	v_cmp_ne_u16_e32 vcc, 0, v16
	s_andn2_b64 s[4:5], s[4:5], exec
	s_and_b64 s[8:9], vcc, exec
	v_mov_b32_e32 v15, 0
	s_or_b64 s[4:5], s[4:5], s[8:9]
	s_or_b64 exec, exec, s[6:7]
	s_and_saveexec_b64 s[6:7], s[4:5]
	s_cbranch_execnz .LBB3_239
	s_branch .LBB3_240
.LBB3_497:
	s_movk_i32 s4, 0x80
	v_cmp_eq_u16_sdwa s[12:13], v3, s4 src0_sel:BYTE_0 src1_sel:DWORD
	s_mov_b64 s[4:5], -1
                                        ; implicit-def: $sgpr10
	s_and_saveexec_b64 s[8:9], s[12:13]
; %bb.498:
	s_mov_b32 s10, 0x7f800001
	s_xor_b64 s[4:5], exec, -1
; %bb.499:
	s_or_b64 exec, exec, s[8:9]
	s_and_b64 s[4:5], s[4:5], exec
	s_or_saveexec_b64 s[6:7], s[6:7]
	v_mov_b32_e32 v2, s10
	s_xor_b64 exec, exec, s[6:7]
	s_cbranch_execz .LBB3_242
.LBB3_500:
	v_mov_b32_e32 v2, 0
	v_cmp_ne_u16_sdwa s[8:9], v3, v2 src0_sel:BYTE_0 src1_sel:DWORD
	s_andn2_b64 s[4:5], s[4:5], exec
	s_and_b64 s[8:9], s[8:9], exec
	s_or_b64 s[4:5], s[4:5], s[8:9]
	s_or_b64 exec, exec, s[6:7]
	s_and_saveexec_b64 s[6:7], s[4:5]
	s_cbranch_execnz .LBB3_243
	s_branch .LBB3_244
.LBB3_501:
	s_movk_i32 s4, 0x80
	v_cmp_eq_u16_sdwa s[12:13], v3, s4 src0_sel:BYTE_1 src1_sel:DWORD
	s_mov_b64 s[4:5], -1
                                        ; implicit-def: $sgpr10
	s_and_saveexec_b64 s[8:9], s[12:13]
; %bb.502:
	s_mov_b32 s10, 0x7f800001
	s_xor_b64 s[4:5], exec, -1
; %bb.503:
	s_or_b64 exec, exec, s[8:9]
	s_and_b64 s[4:5], s[4:5], exec
	s_or_saveexec_b64 s[6:7], s[6:7]
	v_mov_b32_e32 v16, s10
	s_xor_b64 exec, exec, s[6:7]
	s_cbranch_execz .LBB3_246
.LBB3_504:
	v_mov_b32_e32 v16, 0
	v_cmp_ne_u16_sdwa s[8:9], v3, v16 src0_sel:BYTE_1 src1_sel:DWORD
	s_andn2_b64 s[4:5], s[4:5], exec
	s_and_b64 s[8:9], s[8:9], exec
	s_or_b64 s[4:5], s[4:5], s[8:9]
	s_or_b64 exec, exec, s[6:7]
	s_and_saveexec_b64 s[6:7], s[4:5]
	s_cbranch_execnz .LBB3_247
	s_branch .LBB3_248
.LBB3_505:
	s_movk_i32 s4, 0x80
	v_cmp_eq_u16_e32 vcc, s4, v18
	s_mov_b64 s[4:5], -1
                                        ; implicit-def: $sgpr10
	s_and_saveexec_b64 s[8:9], vcc
; %bb.506:
	s_mov_b32 s10, 0x7f800001
	s_xor_b64 s[4:5], exec, -1
; %bb.507:
	s_or_b64 exec, exec, s[8:9]
	s_and_b64 s[4:5], s[4:5], exec
                                        ; implicit-def: $vgpr18
	s_or_saveexec_b64 s[6:7], s[6:7]
	v_mov_b32_e32 v17, s10
	s_xor_b64 exec, exec, s[6:7]
	s_cbranch_execz .LBB3_250
.LBB3_508:
	v_cmp_ne_u16_e32 vcc, 0, v18
	s_andn2_b64 s[4:5], s[4:5], exec
	s_and_b64 s[8:9], vcc, exec
	v_mov_b32_e32 v17, 0
	s_or_b64 s[4:5], s[4:5], s[8:9]
	s_or_b64 exec, exec, s[6:7]
	s_and_saveexec_b64 s[6:7], s[4:5]
	s_cbranch_execnz .LBB3_251
	s_branch .LBB3_252
.LBB3_509:
	s_movk_i32 s4, 0x80
	v_cmp_eq_u16_e32 vcc, s4, v19
	s_mov_b64 s[4:5], -1
                                        ; implicit-def: $sgpr10
	s_and_saveexec_b64 s[8:9], vcc
; %bb.510:
	s_mov_b32 s10, 0x7f800001
	s_xor_b64 s[4:5], exec, -1
; %bb.511:
	s_or_b64 exec, exec, s[8:9]
	s_and_b64 s[4:5], s[4:5], exec
                                        ; implicit-def: $vgpr19
	s_or_saveexec_b64 s[6:7], s[6:7]
	v_mov_b32_e32 v18, s10
	s_xor_b64 exec, exec, s[6:7]
	s_cbranch_execz .LBB3_254
.LBB3_512:
	v_cmp_ne_u16_e32 vcc, 0, v19
	s_andn2_b64 s[4:5], s[4:5], exec
	s_and_b64 s[8:9], vcc, exec
	v_mov_b32_e32 v18, 0
	s_or_b64 s[4:5], s[4:5], s[8:9]
	s_or_b64 exec, exec, s[6:7]
	s_and_saveexec_b64 s[6:7], s[4:5]
	s_cbranch_execnz .LBB3_255
	s_branch .LBB3_256
.Lfunc_end3:
	.size	_ZNK2ck32ThreadwiseTensorSliceTransfer_v4INS_9f8_fnuz_tEDF16_KNS_16TensorDescriptorINS_5TupleIJNS_5EmbedINS3_IJNS_17integral_constantIiLi16EEENS5_IiLi32EEES6_EEENS3_IJS6_NS5_IiLi256EEENS5_IiLi1EEEEEELb0EEENS_3XorINS3_IJS7_S6_EEELb1EEENS_11PassThroughIS6_EENS_7UnMergeINS3_IJS6_SA_EEELb0EEENSG_IS7_EESH_SH_NS_21Merge_v3_division_modINS3_IJS7_SA_EEEEESH_NSM_INS3_IJS6_S6_EEEEENSI_INS3_IJNS5_IiLi2EEESA_S6_EEELb0EEEEEENS3_IJNS_8SequenceIJLi0EEEENSV_IJLi2ELi1EEEENSV_IJLi3EEEENSV_IJLi5EEEENSV_IJLi4EEEENSV_IJLi6EEEENSV_IJLi7EEEENSV_IJLi9ELi8EEEENSV_IJLi10EEEENSV_IJLi11ELi13EEEENSV_IJLi12EEEEEEENS3_IJNSV_IJLi1ELi2ELi3EEEENSV_IJLi4ELi5EEEES11_NSV_IJLi7ELi8EEEENSV_IJLi9EEEES14_NSV_IJLi11EEEES16_NSV_IJLi13EEEENSV_IJLi14EEEENSV_IJLi15ELi16ELi17EEEEEEENSV_IJLi15ELi16ELi17ELi14EEEENS5_IlLl8192EEEEEKNS2_INS3_IJNS4_INS3_IJSR_SA_SA_NS5_IiLi64EEEEEENS3_IJS1L_NS5_IiLi128EEES1N_SA_EEELb0EEEEEENS3_IJSW_EEENS3_IJNSV_IJLi1ELi2ELi3ELi4EEEEEEES1S_NS5_IlLl128EEEEENSV_IJLi1ELi1ELi1ELi64EEEENSV_IJLi0ELi1ELi2ELi3EEEELi3ELi16ELi16ELb0EE3RunINS3_IJSA_NS5_IiLi0EEES21_S21_EEES22_NS_13DynamicBufferILNS_16AddressSpaceEnumE2ES1_S1I_Lb1ELNS_22AmdBufferCoherenceEnumE0EiEENS_12StaticBufferILS24_4EDF16_Li128ELb1EEEEEvRS1K_RKT_RKT1_RS1W_RKT0_RT2_, .Lfunc_end3-_ZNK2ck32ThreadwiseTensorSliceTransfer_v4INS_9f8_fnuz_tEDF16_KNS_16TensorDescriptorINS_5TupleIJNS_5EmbedINS3_IJNS_17integral_constantIiLi16EEENS5_IiLi32EEES6_EEENS3_IJS6_NS5_IiLi256EEENS5_IiLi1EEEEEELb0EEENS_3XorINS3_IJS7_S6_EEELb1EEENS_11PassThroughIS6_EENS_7UnMergeINS3_IJS6_SA_EEELb0EEENSG_IS7_EESH_SH_NS_21Merge_v3_division_modINS3_IJS7_SA_EEEEESH_NSM_INS3_IJS6_S6_EEEEENSI_INS3_IJNS5_IiLi2EEESA_S6_EEELb0EEEEEENS3_IJNS_8SequenceIJLi0EEEENSV_IJLi2ELi1EEEENSV_IJLi3EEEENSV_IJLi5EEEENSV_IJLi4EEEENSV_IJLi6EEEENSV_IJLi7EEEENSV_IJLi9ELi8EEEENSV_IJLi10EEEENSV_IJLi11ELi13EEEENSV_IJLi12EEEEEEENS3_IJNSV_IJLi1ELi2ELi3EEEENSV_IJLi4ELi5EEEES11_NSV_IJLi7ELi8EEEENSV_IJLi9EEEES14_NSV_IJLi11EEEES16_NSV_IJLi13EEEENSV_IJLi14EEEENSV_IJLi15ELi16ELi17EEEEEEENSV_IJLi15ELi16ELi17ELi14EEEENS5_IlLl8192EEEEEKNS2_INS3_IJNS4_INS3_IJSR_SA_SA_NS5_IiLi64EEEEEENS3_IJS1L_NS5_IiLi128EEES1N_SA_EEELb0EEEEEENS3_IJSW_EEENS3_IJNSV_IJLi1ELi2ELi3ELi4EEEEEEES1S_NS5_IlLl128EEEEENSV_IJLi1ELi1ELi1ELi64EEEENSV_IJLi0ELi1ELi2ELi3EEEELi3ELi16ELi16ELb0EE3RunINS3_IJSA_NS5_IiLi0EEES21_S21_EEES22_NS_13DynamicBufferILNS_16AddressSpaceEnumE2ES1_S1I_Lb1ELNS_22AmdBufferCoherenceEnumE0EiEENS_12StaticBufferILS24_4EDF16_Li128ELb1EEEEEvRS1K_RKT_RKT1_RS1W_RKT0_RT2_
                                        ; -- End function
	.section	.AMDGPU.csdata,"",@progbits
; Function info:
; codeLenInByte = 17252
; NumSgprs: 36
; NumVgprs: 28
; NumAgprs: 0
; TotalNumVgprs: 28
; ScratchSize: 0
; MemoryBound: 0
	.text
	.p2align	2                               ; -- Begin function _ZNK2ck31BlockwiseGemmXdlops_pipeline_v1ILNS_26BlockGemmPipelineSchedulerE1ELi64EDF16_NS_9f8_fnuz_tEDF16_fNS_16TensorDescriptorINS_5TupleIJNS_5EmbedINS4_IJNS_17integral_constantIiLi32EEES7_NS6_IiLi8EEEEEENS4_IJS8_NS6_IiLi256EEENS6_IiLi1EEEEEELb0EEENS_3XorINS4_IJS7_S7_EEELb1EEENS_11PassThroughIS8_EENS_7UnMergeINS4_IJS7_SB_EEELb0EEENSH_IS7_EESI_SM_NS_21Merge_v3_division_modISK_EESI_EEENS4_IJNS_8SequenceIJLi0EEEENSQ_IJLi2ELi1EEEENSQ_IJLi3EEEENSQ_IJLi5EEEENSQ_IJLi4EEEENSQ_IJLi6EEEENSQ_IJLi7EEEENSQ_IJLi9ELi8EEEENSQ_IJLi10EEEEEEENS4_IJNSQ_IJLi1ELi2ELi3EEEENSQ_IJLi4ELi5EEEESW_NSQ_IJLi7ELi8EEEENSQ_IJLi9EEEESZ_NSQ_IJLi11EEEENSQ_IJLi12EEEENSQ_IJLi13EEEEEEENSQ_IJLi11ELi12ELi13EEEENS6_IlLl8192EEEEENS3_INS4_IJNS5_INS4_IJNS6_IiLi16EEES7_S1C_EEENS4_IJS1C_SA_SB_EEELb0EEENSE_INS4_IJS7_S1C_EEELb1EEENSH_IS1C_EENSJ_INS4_IJS1C_SB_EEELb0EEESM_S1I_S1I_SO_S1I_EEES10_S18_S19_S1A_EENS3_INS4_IJSD_SG_SI_SL_SM_SI_SM_SO_SI_NSN_INS4_IJS7_S8_EEEEENSJ_INS4_IJNS6_IiLi2EEESB_S1C_EEELb0EEEEEENS4_IJSR_SS_ST_SU_SV_SW_SX_SY_SZ_NSQ_IJLi11ELi13EEEES16_EEENS4_IJS11_S12_SW_S13_S14_SZ_S15_S16_S17_NSQ_IJLi14EEEENSQ_IJLi15ELi16ELi17EEEEEEENSQ_IJLi15ELi16ELi17ELi14EEEES1A_EENS3_INS4_IJS1F_S1H_S1I_S1K_SM_S1I_S1I_SO_S1I_NSN_INS4_IJS1C_S1C_EEEEES1R_EEES1U_S1X_S1Y_S1A_EELi8ELi16ELi32ELi32ELi256ELi16ELi16ELi2ELi2ELi16ELb0EE3RunILb1ELNS_10TailNumberE10ENS3_INS4_IJNS5_INS4_IJiiEEENS4_IJiSB_EEELb0EEENSJ_IS27_Lb0EEENSH_IiEEEEENS4_IJSR_NSQ_IJLi2EEEENSQ_IJLi1EEEEEEENS4_IJNSQ_IJLi1ELi2EEEENSQ_IJLi3ELi4EEEESU_EEENSQ_IJLi3ELi5ELi4EEEElEES1B_NS_35ThreadGroupTensorSliceTransfer_v4r1INS_15ThisThreadBlockILi64EEENS_16tensor_operation12element_wise11PassThroughES2Q_LNS_25InMemoryDataOperationEnumE0ENSQ_IJLi32ELi32ELi8EEEENSQ_IJLi32ELi2ELi1EEEENSQ_IJLi1ELi0ELi2EEEEDF16_DF16_RKS2K_KS1B_S2U_NSQ_IJLi0ELi1ELi2EEEELi2ELi2ELi8ELi8ELi1ELi1ELb0ELb1ELi1EiEENS_13DynamicBufferILNS_16AddressSpaceEnumE1EKDF16_lLb1ELNS_22AmdBufferCoherenceEnumE0EiEENS30_ILS31_2EDF16_S1A_Lb1ELS33_0EiEENS4_IJiiiEEES2K_S1M_NS2L_IS2N_S2Q_S2Q_LS2R_0ENSQ_IJLi16ELi32ELi16EEEENSQ_IJLi16ELi4ELi1EEEES2U_S2_S2_S2W_KS1M_S2U_S2Y_Li2ELi2ELi16ELi16ELi1ELi1ELb0ELb1ELi1EiEENS30_ILS31_1EKS2_lLb1ELS33_0EiEENS30_ILS31_2ES2_S1A_Lb1ELS33_0EiEES36_NS_25StaticBufferTupleOfVectorILS31_4EfLi4ELi4ELb1ELb0EEEEEvRKT1_RKT2_RT3_RKT4_RT5_RKT6_RKT7_RKT8_RT9_RKT10_RT11_RKT12_RT13_i
	.type	_ZNK2ck31BlockwiseGemmXdlops_pipeline_v1ILNS_26BlockGemmPipelineSchedulerE1ELi64EDF16_NS_9f8_fnuz_tEDF16_fNS_16TensorDescriptorINS_5TupleIJNS_5EmbedINS4_IJNS_17integral_constantIiLi32EEES7_NS6_IiLi8EEEEEENS4_IJS8_NS6_IiLi256EEENS6_IiLi1EEEEEELb0EEENS_3XorINS4_IJS7_S7_EEELb1EEENS_11PassThroughIS8_EENS_7UnMergeINS4_IJS7_SB_EEELb0EEENSH_IS7_EESI_SM_NS_21Merge_v3_division_modISK_EESI_EEENS4_IJNS_8SequenceIJLi0EEEENSQ_IJLi2ELi1EEEENSQ_IJLi3EEEENSQ_IJLi5EEEENSQ_IJLi4EEEENSQ_IJLi6EEEENSQ_IJLi7EEEENSQ_IJLi9ELi8EEEENSQ_IJLi10EEEEEEENS4_IJNSQ_IJLi1ELi2ELi3EEEENSQ_IJLi4ELi5EEEESW_NSQ_IJLi7ELi8EEEENSQ_IJLi9EEEESZ_NSQ_IJLi11EEEENSQ_IJLi12EEEENSQ_IJLi13EEEEEEENSQ_IJLi11ELi12ELi13EEEENS6_IlLl8192EEEEENS3_INS4_IJNS5_INS4_IJNS6_IiLi16EEES7_S1C_EEENS4_IJS1C_SA_SB_EEELb0EEENSE_INS4_IJS7_S1C_EEELb1EEENSH_IS1C_EENSJ_INS4_IJS1C_SB_EEELb0EEESM_S1I_S1I_SO_S1I_EEES10_S18_S19_S1A_EENS3_INS4_IJSD_SG_SI_SL_SM_SI_SM_SO_SI_NSN_INS4_IJS7_S8_EEEEENSJ_INS4_IJNS6_IiLi2EEESB_S1C_EEELb0EEEEEENS4_IJSR_SS_ST_SU_SV_SW_SX_SY_SZ_NSQ_IJLi11ELi13EEEES16_EEENS4_IJS11_S12_SW_S13_S14_SZ_S15_S16_S17_NSQ_IJLi14EEEENSQ_IJLi15ELi16ELi17EEEEEEENSQ_IJLi15ELi16ELi17ELi14EEEES1A_EENS3_INS4_IJS1F_S1H_S1I_S1K_SM_S1I_S1I_SO_S1I_NSN_INS4_IJS1C_S1C_EEEEES1R_EEES1U_S1X_S1Y_S1A_EELi8ELi16ELi32ELi32ELi256ELi16ELi16ELi2ELi2ELi16ELb0EE3RunILb1ELNS_10TailNumberE10ENS3_INS4_IJNS5_INS4_IJiiEEENS4_IJiSB_EEELb0EEENSJ_IS27_Lb0EEENSH_IiEEEEENS4_IJSR_NSQ_IJLi2EEEENSQ_IJLi1EEEEEEENS4_IJNSQ_IJLi1ELi2EEEENSQ_IJLi3ELi4EEEESU_EEENSQ_IJLi3ELi5ELi4EEEElEES1B_NS_35ThreadGroupTensorSliceTransfer_v4r1INS_15ThisThreadBlockILi64EEENS_16tensor_operation12element_wise11PassThroughES2Q_LNS_25InMemoryDataOperationEnumE0ENSQ_IJLi32ELi32ELi8EEEENSQ_IJLi32ELi2ELi1EEEENSQ_IJLi1ELi0ELi2EEEEDF16_DF16_RKS2K_KS1B_S2U_NSQ_IJLi0ELi1ELi2EEEELi2ELi2ELi8ELi8ELi1ELi1ELb0ELb1ELi1EiEENS_13DynamicBufferILNS_16AddressSpaceEnumE1EKDF16_lLb1ELNS_22AmdBufferCoherenceEnumE0EiEENS30_ILS31_2EDF16_S1A_Lb1ELS33_0EiEENS4_IJiiiEEES2K_S1M_NS2L_IS2N_S2Q_S2Q_LS2R_0ENSQ_IJLi16ELi32ELi16EEEENSQ_IJLi16ELi4ELi1EEEES2U_S2_S2_S2W_KS1M_S2U_S2Y_Li2ELi2ELi16ELi16ELi1ELi1ELb0ELb1ELi1EiEENS30_ILS31_1EKS2_lLb1ELS33_0EiEENS30_ILS31_2ES2_S1A_Lb1ELS33_0EiEES36_NS_25StaticBufferTupleOfVectorILS31_4EfLi4ELi4ELb1ELb0EEEEEvRKT1_RKT2_RT3_RKT4_RT5_RKT6_RKT7_RKT8_RT9_RKT10_RT11_RKT12_RT13_i,@function
_ZNK2ck31BlockwiseGemmXdlops_pipeline_v1ILNS_26BlockGemmPipelineSchedulerE1ELi64EDF16_NS_9f8_fnuz_tEDF16_fNS_16TensorDescriptorINS_5TupleIJNS_5EmbedINS4_IJNS_17integral_constantIiLi32EEES7_NS6_IiLi8EEEEEENS4_IJS8_NS6_IiLi256EEENS6_IiLi1EEEEEELb0EEENS_3XorINS4_IJS7_S7_EEELb1EEENS_11PassThroughIS8_EENS_7UnMergeINS4_IJS7_SB_EEELb0EEENSH_IS7_EESI_SM_NS_21Merge_v3_division_modISK_EESI_EEENS4_IJNS_8SequenceIJLi0EEEENSQ_IJLi2ELi1EEEENSQ_IJLi3EEEENSQ_IJLi5EEEENSQ_IJLi4EEEENSQ_IJLi6EEEENSQ_IJLi7EEEENSQ_IJLi9ELi8EEEENSQ_IJLi10EEEEEEENS4_IJNSQ_IJLi1ELi2ELi3EEEENSQ_IJLi4ELi5EEEESW_NSQ_IJLi7ELi8EEEENSQ_IJLi9EEEESZ_NSQ_IJLi11EEEENSQ_IJLi12EEEENSQ_IJLi13EEEEEEENSQ_IJLi11ELi12ELi13EEEENS6_IlLl8192EEEEENS3_INS4_IJNS5_INS4_IJNS6_IiLi16EEES7_S1C_EEENS4_IJS1C_SA_SB_EEELb0EEENSE_INS4_IJS7_S1C_EEELb1EEENSH_IS1C_EENSJ_INS4_IJS1C_SB_EEELb0EEESM_S1I_S1I_SO_S1I_EEES10_S18_S19_S1A_EENS3_INS4_IJSD_SG_SI_SL_SM_SI_SM_SO_SI_NSN_INS4_IJS7_S8_EEEEENSJ_INS4_IJNS6_IiLi2EEESB_S1C_EEELb0EEEEEENS4_IJSR_SS_ST_SU_SV_SW_SX_SY_SZ_NSQ_IJLi11ELi13EEEES16_EEENS4_IJS11_S12_SW_S13_S14_SZ_S15_S16_S17_NSQ_IJLi14EEEENSQ_IJLi15ELi16ELi17EEEEEEENSQ_IJLi15ELi16ELi17ELi14EEEES1A_EENS3_INS4_IJS1F_S1H_S1I_S1K_SM_S1I_S1I_SO_S1I_NSN_INS4_IJS1C_S1C_EEEEES1R_EEES1U_S1X_S1Y_S1A_EELi8ELi16ELi32ELi32ELi256ELi16ELi16ELi2ELi2ELi16ELb0EE3RunILb1ELNS_10TailNumberE10ENS3_INS4_IJNS5_INS4_IJiiEEENS4_IJiSB_EEELb0EEENSJ_IS27_Lb0EEENSH_IiEEEEENS4_IJSR_NSQ_IJLi2EEEENSQ_IJLi1EEEEEEENS4_IJNSQ_IJLi1ELi2EEEENSQ_IJLi3ELi4EEEESU_EEENSQ_IJLi3ELi5ELi4EEEElEES1B_NS_35ThreadGroupTensorSliceTransfer_v4r1INS_15ThisThreadBlockILi64EEENS_16tensor_operation12element_wise11PassThroughES2Q_LNS_25InMemoryDataOperationEnumE0ENSQ_IJLi32ELi32ELi8EEEENSQ_IJLi32ELi2ELi1EEEENSQ_IJLi1ELi0ELi2EEEEDF16_DF16_RKS2K_KS1B_S2U_NSQ_IJLi0ELi1ELi2EEEELi2ELi2ELi8ELi8ELi1ELi1ELb0ELb1ELi1EiEENS_13DynamicBufferILNS_16AddressSpaceEnumE1EKDF16_lLb1ELNS_22AmdBufferCoherenceEnumE0EiEENS30_ILS31_2EDF16_S1A_Lb1ELS33_0EiEENS4_IJiiiEEES2K_S1M_NS2L_IS2N_S2Q_S2Q_LS2R_0ENSQ_IJLi16ELi32ELi16EEEENSQ_IJLi16ELi4ELi1EEEES2U_S2_S2_S2W_KS1M_S2U_S2Y_Li2ELi2ELi16ELi16ELi1ELi1ELb0ELb1ELi1EiEENS30_ILS31_1EKS2_lLb1ELS33_0EiEENS30_ILS31_2ES2_S1A_Lb1ELS33_0EiEES36_NS_25StaticBufferTupleOfVectorILS31_4EfLi4ELi4ELb1ELb0EEEEEvRKT1_RKT2_RT3_RKT4_RT5_RKT6_RKT7_RKT8_RT9_RKT10_RT11_RKT12_RT13_i: ; @_ZNK2ck31BlockwiseGemmXdlops_pipeline_v1ILNS_26BlockGemmPipelineSchedulerE1ELi64EDF16_NS_9f8_fnuz_tEDF16_fNS_16TensorDescriptorINS_5TupleIJNS_5EmbedINS4_IJNS_17integral_constantIiLi32EEES7_NS6_IiLi8EEEEEENS4_IJS8_NS6_IiLi256EEENS6_IiLi1EEEEEELb0EEENS_3XorINS4_IJS7_S7_EEELb1EEENS_11PassThroughIS8_EENS_7UnMergeINS4_IJS7_SB_EEELb0EEENSH_IS7_EESI_SM_NS_21Merge_v3_division_modISK_EESI_EEENS4_IJNS_8SequenceIJLi0EEEENSQ_IJLi2ELi1EEEENSQ_IJLi3EEEENSQ_IJLi5EEEENSQ_IJLi4EEEENSQ_IJLi6EEEENSQ_IJLi7EEEENSQ_IJLi9ELi8EEEENSQ_IJLi10EEEEEEENS4_IJNSQ_IJLi1ELi2ELi3EEEENSQ_IJLi4ELi5EEEESW_NSQ_IJLi7ELi8EEEENSQ_IJLi9EEEESZ_NSQ_IJLi11EEEENSQ_IJLi12EEEENSQ_IJLi13EEEEEEENSQ_IJLi11ELi12ELi13EEEENS6_IlLl8192EEEEENS3_INS4_IJNS5_INS4_IJNS6_IiLi16EEES7_S1C_EEENS4_IJS1C_SA_SB_EEELb0EEENSE_INS4_IJS7_S1C_EEELb1EEENSH_IS1C_EENSJ_INS4_IJS1C_SB_EEELb0EEESM_S1I_S1I_SO_S1I_EEES10_S18_S19_S1A_EENS3_INS4_IJSD_SG_SI_SL_SM_SI_SM_SO_SI_NSN_INS4_IJS7_S8_EEEEENSJ_INS4_IJNS6_IiLi2EEESB_S1C_EEELb0EEEEEENS4_IJSR_SS_ST_SU_SV_SW_SX_SY_SZ_NSQ_IJLi11ELi13EEEES16_EEENS4_IJS11_S12_SW_S13_S14_SZ_S15_S16_S17_NSQ_IJLi14EEEENSQ_IJLi15ELi16ELi17EEEEEEENSQ_IJLi15ELi16ELi17ELi14EEEES1A_EENS3_INS4_IJS1F_S1H_S1I_S1K_SM_S1I_S1I_SO_S1I_NSN_INS4_IJS1C_S1C_EEEEES1R_EEES1U_S1X_S1Y_S1A_EELi8ELi16ELi32ELi32ELi256ELi16ELi16ELi2ELi2ELi16ELb0EE3RunILb1ELNS_10TailNumberE10ENS3_INS4_IJNS5_INS4_IJiiEEENS4_IJiSB_EEELb0EEENSJ_IS27_Lb0EEENSH_IiEEEEENS4_IJSR_NSQ_IJLi2EEEENSQ_IJLi1EEEEEEENS4_IJNSQ_IJLi1ELi2EEEENSQ_IJLi3ELi4EEEESU_EEENSQ_IJLi3ELi5ELi4EEEElEES1B_NS_35ThreadGroupTensorSliceTransfer_v4r1INS_15ThisThreadBlockILi64EEENS_16tensor_operation12element_wise11PassThroughES2Q_LNS_25InMemoryDataOperationEnumE0ENSQ_IJLi32ELi32ELi8EEEENSQ_IJLi32ELi2ELi1EEEENSQ_IJLi1ELi0ELi2EEEEDF16_DF16_RKS2K_KS1B_S2U_NSQ_IJLi0ELi1ELi2EEEELi2ELi2ELi8ELi8ELi1ELi1ELb0ELb1ELi1EiEENS_13DynamicBufferILNS_16AddressSpaceEnumE1EKDF16_lLb1ELNS_22AmdBufferCoherenceEnumE0EiEENS30_ILS31_2EDF16_S1A_Lb1ELS33_0EiEENS4_IJiiiEEES2K_S1M_NS2L_IS2N_S2Q_S2Q_LS2R_0ENSQ_IJLi16ELi32ELi16EEEENSQ_IJLi16ELi4ELi1EEEES2U_S2_S2_S2W_KS1M_S2U_S2Y_Li2ELi2ELi16ELi16ELi1ELi1ELb0ELb1ELi1EiEENS30_ILS31_1EKS2_lLb1ELS33_0EiEENS30_ILS31_2ES2_S1A_Lb1ELS33_0EiEES36_NS_25StaticBufferTupleOfVectorILS31_4EfLi4ELi4ELb1ELb0EEEEEvRKT1_RKT2_RT3_RKT4_RT5_RKT6_RKT7_RKT8_RT9_RKT10_RT11_RKT12_RT13_i
; %bb.0:
	s_waitcnt vmcnt(0) expcnt(0) lgkmcnt(0)
	s_mov_b32 s28, s33
	s_mov_b32 s33, s32
	s_or_saveexec_b64 s[4:5], -1
	buffer_store_dword v127, off, s[0:3], s33 offset:256 ; 4-byte Folded Spill
	s_mov_b64 exec, s[4:5]
	v_writelane_b32 v127, s30, 0
	v_writelane_b32 v127, s31, 1
	s_addk_i32 s32, 0x4400
	v_mov_b32_e32 v47, v5
	v_mov_b32_e32 v46, v4
	;; [unrolled: 1-line block ×6, first 2 shown]
	flat_store_byte v[46:47], v0 offset:272
	v_mov_b32_e32 v79, v9
	v_mov_b32_e32 v78, v8
	;; [unrolled: 1-line block ×5, first 2 shown]
	flat_load_dwordx4 v[0:3], v[56:57]
	flat_load_dwordx2 v[8:9], v[46:47] offset:688
	v_accvgpr_write_b32 a31, v21
	v_accvgpr_write_b32 a33, v11
	s_waitcnt vmcnt(0) lgkmcnt(0)
	v_mov_b32_e32 v3, 0
	s_mov_b32 s12, 0x20000
	v_mov_b32_e32 v60, v24
	v_mov_b32_e32 v101, v23
	;; [unrolled: 1-line block ×3, first 2 shown]
	v_accvgpr_write_b32 a30, v20
	v_mov_b32_e32 v113, v19
	v_mov_b32_e32 v112, v18
	;; [unrolled: 1-line block ×8, first 2 shown]
	v_accvgpr_write_b32 a32, v10
	buffer_store_dword v3, off, s[0:3], s33 offset:4
	buffer_store_dword v3, off, s[0:3], s33
	buffer_store_dword v3, off, s[0:3], s33 offset:12
	buffer_store_dword v3, off, s[0:3], s33 offset:8
	;; [unrolled: 1-line block ×62, first 2 shown]
	v_mov_b32_e32 v3, s12
	s_mov_b64 s[6:7], exec
	v_lshlrev_b32_e32 v2, 1, v2
	v_lshlrev_b32_e32 v10, 1, v8
.LBB4_1:                                ; =>This Inner Loop Header: Depth=1
	v_readfirstlane_b32 s8, v0
	v_readfirstlane_b32 s9, v1
	;; [unrolled: 1-line block ×4, first 2 shown]
	v_cmp_eq_u64_e32 vcc, s[8:9], v[0:1]
	v_cmp_eq_u64_e64 s[4:5], s[10:11], v[2:3]
	s_and_b64 s[4:5], vcc, s[4:5]
	s_and_saveexec_b64 s[4:5], s[4:5]
	s_nop 0
	buffer_load_dwordx4 v[4:7], v10, s[8:11], 0 offen
                                        ; implicit-def: $vgpr0_vgpr1_vgpr2_vgpr3
                                        ; implicit-def: $vgpr10
	s_xor_b64 exec, exec, s[4:5]
	s_cbranch_execnz .LBB4_1
; %bb.2:
	s_mov_b64 exec, s[6:7]
	flat_load_dword v10, v[46:47] offset:708
	v_add_u32_e32 v0, 1, v9
	flat_store_dword v[46:47], v0 offset:692
	s_waitcnt vmcnt(0)
	flat_store_dwordx4 v[46:47], v[4:7]
	v_mov_b32_e32 v1, 1
	flat_store_byte v[46:47], v1 offset:280
	s_mov_b64 s[6:7], exec
	s_waitcnt lgkmcnt(0)
	v_add_u32_e32 v0, 1, v10
	flat_store_dword v[46:47], v0 offset:708
	flat_load_dword v0, v[58:59] offset:8
	s_waitcnt vmcnt(0) lgkmcnt(0)
	v_add_u32_e32 v8, v0, v8
	flat_store_dword v[46:47], v8 offset:688
	flat_load_dwordx4 v[0:3], v[56:57]
	v_lshlrev_b32_e32 v11, 1, v8
	s_waitcnt vmcnt(0) lgkmcnt(0)
	v_mov_b32_e32 v3, s12
	v_lshlrev_b32_e32 v2, 1, v2
.LBB4_3:                                ; =>This Inner Loop Header: Depth=1
	v_readfirstlane_b32 s8, v0
	v_readfirstlane_b32 s9, v1
	v_readfirstlane_b32 s10, v2
	v_readfirstlane_b32 s11, v3
	v_cmp_eq_u64_e32 vcc, s[8:9], v[0:1]
	v_cmp_eq_u64_e64 s[4:5], s[10:11], v[2:3]
	s_and_b64 s[4:5], vcc, s[4:5]
	s_and_saveexec_b64 s[4:5], s[4:5]
	s_nop 0
	buffer_load_dwordx4 v[4:7], v11, s[8:11], 0 offen
                                        ; implicit-def: $vgpr0_vgpr1_vgpr2_vgpr3
                                        ; implicit-def: $vgpr11
	s_xor_b64 exec, exec, s[4:5]
	s_cbranch_execnz .LBB4_3
; %bb.4:
	s_mov_b64 exec, s[6:7]
	v_add_u32_e32 v0, 2, v10
	flat_store_dword v[46:47], v0 offset:708
	v_add_u32_e32 v0, 2, v9
	s_waitcnt vmcnt(0)
	flat_store_dwordx4 v[46:47], v[4:7] offset:16
	flat_store_dword v[46:47], v0 offset:692
	flat_load_dword v0, v[58:59] offset:8
	v_mov_b32_e32 v1, 1
	flat_store_byte v[46:47], v1 offset:288
	s_mov_b64 s[6:7], exec
	s_waitcnt vmcnt(0) lgkmcnt(0)
	v_add_u32_e32 v8, v0, v8
	flat_store_dword v[46:47], v8 offset:688
	flat_load_dwordx4 v[0:3], v[56:57]
	v_lshlrev_b32_e32 v11, 1, v8
	s_waitcnt vmcnt(0) lgkmcnt(0)
	v_mov_b32_e32 v3, s12
	v_lshlrev_b32_e32 v2, 1, v2
.LBB4_5:                                ; =>This Inner Loop Header: Depth=1
	v_readfirstlane_b32 s8, v0
	v_readfirstlane_b32 s9, v1
	v_readfirstlane_b32 s10, v2
	v_readfirstlane_b32 s11, v3
	v_cmp_eq_u64_e32 vcc, s[8:9], v[0:1]
	v_cmp_eq_u64_e64 s[4:5], s[10:11], v[2:3]
	s_and_b64 s[4:5], vcc, s[4:5]
	s_and_saveexec_b64 s[4:5], s[4:5]
	s_nop 0
	buffer_load_dwordx4 v[4:7], v11, s[8:11], 0 offen
                                        ; implicit-def: $vgpr0_vgpr1_vgpr2_vgpr3
                                        ; implicit-def: $vgpr11
	s_xor_b64 exec, exec, s[4:5]
	s_cbranch_execnz .LBB4_5
; %bb.6:
	s_mov_b64 exec, s[6:7]
	v_add_u32_e32 v0, 3, v10
	flat_store_dword v[46:47], v0 offset:708
	v_add_u32_e32 v0, 3, v9
	s_waitcnt vmcnt(0)
	flat_store_dwordx4 v[46:47], v[4:7] offset:32
	flat_store_dword v[46:47], v0 offset:692
	flat_load_dword v0, v[58:59] offset:8
	v_mov_b32_e32 v1, 1
	flat_store_byte v[46:47], v1 offset:296
	s_mov_b64 s[6:7], exec
	;; [unrolled: 35-line block ×4, first 2 shown]
	s_waitcnt vmcnt(0) lgkmcnt(0)
	v_add_u32_e32 v8, v0, v8
	flat_store_dword v[46:47], v8 offset:688
	flat_load_dwordx4 v[0:3], v[56:57]
	v_lshlrev_b32_e32 v11, 1, v8
	s_waitcnt vmcnt(0) lgkmcnt(0)
	v_mov_b32_e32 v3, s12
	v_lshlrev_b32_e32 v2, 1, v2
.LBB4_11:                               ; =>This Inner Loop Header: Depth=1
	v_readfirstlane_b32 s8, v0
	v_readfirstlane_b32 s9, v1
	v_readfirstlane_b32 s10, v2
	v_readfirstlane_b32 s11, v3
	v_cmp_eq_u64_e32 vcc, s[8:9], v[0:1]
	v_cmp_eq_u64_e64 s[4:5], s[10:11], v[2:3]
	s_and_b64 s[4:5], vcc, s[4:5]
	s_and_saveexec_b64 s[4:5], s[4:5]
	s_nop 0
	buffer_load_dwordx4 v[4:7], v11, s[8:11], 0 offen
                                        ; implicit-def: $vgpr0_vgpr1_vgpr2_vgpr3
                                        ; implicit-def: $vgpr11
	s_xor_b64 exec, exec, s[4:5]
	s_cbranch_execnz .LBB4_11
; %bb.12:
	s_mov_b64 exec, s[6:7]
	v_add_u32_e32 v0, 6, v10
	flat_store_dword v[46:47], v0 offset:708
	v_add_u32_e32 v0, 6, v9
	s_waitcnt vmcnt(0)
	flat_store_dwordx4 v[46:47], v[4:7] offset:80
	flat_store_dword v[46:47], v0 offset:692
	flat_load_dword v0, v[58:59] offset:8
	v_mov_b32_e32 v1, 1
	flat_store_byte v[46:47], v1 offset:320
	s_mov_b64 s[6:7], exec
	s_waitcnt vmcnt(0) lgkmcnt(0)
	v_add_u32_e32 v8, v0, v8
	flat_store_dword v[46:47], v8 offset:688
	flat_load_dwordx4 v[0:3], v[56:57]
	v_lshlrev_b32_e32 v11, 1, v8
	s_waitcnt vmcnt(0) lgkmcnt(0)
	v_mov_b32_e32 v3, s12
	v_lshlrev_b32_e32 v2, 1, v2
.LBB4_13:                               ; =>This Inner Loop Header: Depth=1
	v_readfirstlane_b32 s8, v0
	v_readfirstlane_b32 s9, v1
	v_readfirstlane_b32 s10, v2
	v_readfirstlane_b32 s11, v3
	v_cmp_eq_u64_e32 vcc, s[8:9], v[0:1]
	v_cmp_eq_u64_e64 s[4:5], s[10:11], v[2:3]
	s_and_b64 s[4:5], vcc, s[4:5]
	s_and_saveexec_b64 s[4:5], s[4:5]
	s_nop 0
	buffer_load_dwordx4 v[4:7], v11, s[8:11], 0 offen
                                        ; implicit-def: $vgpr0_vgpr1_vgpr2_vgpr3
                                        ; implicit-def: $vgpr11
	s_xor_b64 exec, exec, s[4:5]
	s_cbranch_execnz .LBB4_13
; %bb.14:
	s_mov_b64 exec, s[6:7]
	v_add_u32_e32 v0, 7, v10
	flat_store_dword v[46:47], v0 offset:708
	v_add_u32_e32 v0, 7, v9
	s_waitcnt vmcnt(0)
	flat_store_dwordx4 v[46:47], v[4:7] offset:96
	flat_store_dword v[46:47], v0 offset:692
	flat_load_dword v0, v[58:59] offset:8
	v_mov_b32_e32 v1, 1
	flat_store_byte v[46:47], v1 offset:328
	s_mov_b64 s[6:7], exec
	;; [unrolled: 35-line block ×9, first 2 shown]
	s_waitcnt vmcnt(0) lgkmcnt(0)
	v_add_u32_e32 v8, v0, v8
	flat_store_dword v[46:47], v8 offset:688
	flat_load_dwordx4 v[0:3], v[56:57]
	v_lshlrev_b32_e32 v11, 1, v8
	s_waitcnt vmcnt(0) lgkmcnt(0)
	v_mov_b32_e32 v3, s12
	v_lshlrev_b32_e32 v2, 1, v2
.LBB4_29:                               ; =>This Inner Loop Header: Depth=1
	v_readfirstlane_b32 s8, v0
	v_readfirstlane_b32 s9, v1
	;; [unrolled: 1-line block ×4, first 2 shown]
	v_cmp_eq_u64_e32 vcc, s[8:9], v[0:1]
	v_cmp_eq_u64_e64 s[4:5], s[10:11], v[2:3]
	s_and_b64 s[4:5], vcc, s[4:5]
	s_and_saveexec_b64 s[4:5], s[4:5]
	s_nop 0
	buffer_load_dwordx4 v[4:7], v11, s[8:11], 0 offen
                                        ; implicit-def: $vgpr0_vgpr1_vgpr2_vgpr3
                                        ; implicit-def: $vgpr11
	s_xor_b64 exec, exec, s[4:5]
	s_cbranch_execnz .LBB4_29
; %bb.30:
	s_mov_b64 exec, s[6:7]
	v_add_u32_e32 v0, 15, v10
	flat_store_dword v[46:47], v0 offset:708
	v_add_u32_e32 v0, 15, v9
	s_waitcnt vmcnt(0)
	flat_store_dwordx4 v[46:47], v[4:7] offset:224
	flat_store_dword v[46:47], v0 offset:692
	flat_load_dword v0, v[58:59] offset:8
	s_mov_b64 s[6:7], exec
	s_waitcnt vmcnt(0) lgkmcnt(0)
	v_add_u32_e32 v4, v0, v8
	flat_store_dword v[46:47], v4 offset:688
	flat_load_dwordx4 v[0:3], v[56:57]
	s_waitcnt vmcnt(0) lgkmcnt(0)
	v_mov_b32_e32 v3, 1
	v_lshlrev_b32_e32 v8, 1, v4
	flat_store_byte v[46:47], v3 offset:392
	v_mov_b32_e32 v3, s12
	v_lshlrev_b32_e32 v2, 1, v2
.LBB4_31:                               ; =>This Inner Loop Header: Depth=1
	v_readfirstlane_b32 s8, v0
	v_readfirstlane_b32 s9, v1
	;; [unrolled: 1-line block ×4, first 2 shown]
	v_cmp_eq_u64_e32 vcc, s[8:9], v[0:1]
	v_cmp_eq_u64_e64 s[4:5], s[10:11], v[2:3]
	s_and_b64 s[4:5], vcc, s[4:5]
	s_and_saveexec_b64 s[4:5], s[4:5]
	s_nop 0
	buffer_load_dwordx4 v[4:7], v8, s[8:11], 0 offen
                                        ; implicit-def: $vgpr0_vgpr1_vgpr2_vgpr3
                                        ; implicit-def: $vgpr8
	s_xor_b64 exec, exec, s[4:5]
	s_cbranch_execnz .LBB4_31
; %bb.32:
	s_mov_b64 exec, s[6:7]
	v_mov_b32_e32 v0, 1
	s_waitcnt vmcnt(0)
	flat_store_dwordx4 v[46:47], v[4:7] offset:240
	flat_store_byte v[40:41], v0 offset:144
	flat_load_dwordx2 v[8:9], v[40:41] offset:432
	s_nop 0
	flat_load_dwordx4 v[0:3], v[118:119]
	s_waitcnt vmcnt(0) lgkmcnt(0)
	v_mov_b32_e32 v3, s12
	s_mov_b64 s[6:7], exec
.LBB4_33:                               ; =>This Inner Loop Header: Depth=1
	v_readfirstlane_b32 s8, v0
	v_readfirstlane_b32 s9, v1
	;; [unrolled: 1-line block ×4, first 2 shown]
	v_cmp_eq_u64_e32 vcc, s[8:9], v[0:1]
	v_cmp_eq_u64_e64 s[4:5], s[10:11], v[2:3]
	s_and_b64 s[4:5], vcc, s[4:5]
	s_and_saveexec_b64 s[4:5], s[4:5]
	s_nop 0
	buffer_load_dwordx4 v[4:7], v8, s[8:11], 0 offen
                                        ; implicit-def: $vgpr0_vgpr1_vgpr2_vgpr3
	s_xor_b64 exec, exec, s[4:5]
	s_cbranch_execnz .LBB4_33
; %bb.34:
	s_mov_b64 exec, s[6:7]
	flat_load_dword v10, v[40:41] offset:452
	v_add_u32_e32 v0, 1, v9
	flat_store_dword v[40:41], v0 offset:436
	s_waitcnt vmcnt(0)
	flat_store_dwordx4 v[40:41], v[4:7]
	v_mov_b32_e32 v1, 1
	s_mov_b64 s[6:7], exec
	s_waitcnt lgkmcnt(0)
	v_add_u32_e32 v0, 1, v10
	flat_store_dword v[40:41], v0 offset:452
	flat_load_dword v0, v[42:43] offset:8
	s_waitcnt vmcnt(0) lgkmcnt(0)
	v_add_u32_e32 v8, v0, v8
	flat_store_dword v[40:41], v8 offset:432
	flat_store_byte v[40:41], v1 offset:160
	flat_load_dwordx4 v[0:3], v[118:119]
	s_waitcnt vmcnt(0) lgkmcnt(0)
	v_mov_b32_e32 v3, s12
.LBB4_35:                               ; =>This Inner Loop Header: Depth=1
	v_readfirstlane_b32 s8, v0
	v_readfirstlane_b32 s9, v1
	v_readfirstlane_b32 s10, v2
	v_readfirstlane_b32 s11, v3
	v_cmp_eq_u64_e32 vcc, s[8:9], v[0:1]
	v_cmp_eq_u64_e64 s[4:5], s[10:11], v[2:3]
	s_and_b64 s[4:5], vcc, s[4:5]
	s_and_saveexec_b64 s[4:5], s[4:5]
	s_nop 0
	buffer_load_dwordx4 v[4:7], v8, s[8:11], 0 offen
                                        ; implicit-def: $vgpr0_vgpr1_vgpr2_vgpr3
	s_xor_b64 exec, exec, s[4:5]
	s_cbranch_execnz .LBB4_35
; %bb.36:
	s_mov_b64 exec, s[6:7]
	v_add_u32_e32 v0, 2, v10
	flat_store_dword v[40:41], v0 offset:452
	v_add_u32_e32 v0, 2, v9
	s_waitcnt vmcnt(0)
	flat_store_dwordx4 v[40:41], v[4:7] offset:16
	flat_store_dword v[40:41], v0 offset:436
	flat_load_dword v0, v[42:43] offset:8
	v_mov_b32_e32 v1, 1
	s_mov_b64 s[6:7], exec
	s_waitcnt vmcnt(0) lgkmcnt(0)
	v_add_u32_e32 v8, v0, v8
	flat_store_dword v[40:41], v8 offset:432
	flat_store_byte v[40:41], v1 offset:176
	flat_load_dwordx4 v[0:3], v[118:119]
	s_waitcnt vmcnt(0) lgkmcnt(0)
	v_mov_b32_e32 v3, s12
.LBB4_37:                               ; =>This Inner Loop Header: Depth=1
	v_readfirstlane_b32 s8, v0
	v_readfirstlane_b32 s9, v1
	v_readfirstlane_b32 s10, v2
	v_readfirstlane_b32 s11, v3
	v_cmp_eq_u64_e32 vcc, s[8:9], v[0:1]
	v_cmp_eq_u64_e64 s[4:5], s[10:11], v[2:3]
	s_and_b64 s[4:5], vcc, s[4:5]
	s_and_saveexec_b64 s[4:5], s[4:5]
	s_nop 0
	buffer_load_dwordx4 v[4:7], v8, s[8:11], 0 offen
                                        ; implicit-def: $vgpr0_vgpr1_vgpr2_vgpr3
	s_xor_b64 exec, exec, s[4:5]
	s_cbranch_execnz .LBB4_37
; %bb.38:
	s_mov_b64 exec, s[6:7]
	v_add_u32_e32 v0, 3, v10
	flat_store_dword v[40:41], v0 offset:452
	v_add_u32_e32 v0, 3, v9
	s_waitcnt vmcnt(0)
	flat_store_dwordx4 v[40:41], v[4:7] offset:32
	flat_store_dword v[40:41], v0 offset:436
	flat_load_dword v0, v[42:43] offset:8
	v_mov_b32_e32 v1, 1
	s_mov_b64 s[6:7], exec
	;; [unrolled: 32-line block ×5, first 2 shown]
	s_waitcnt vmcnt(0) lgkmcnt(0)
	v_add_u32_e32 v8, v0, v8
	flat_store_dword v[40:41], v8 offset:432
	flat_store_byte v[40:41], v1 offset:240
	flat_load_dwordx4 v[0:3], v[118:119]
	s_waitcnt vmcnt(0) lgkmcnt(0)
	v_mov_b32_e32 v3, s12
.LBB4_45:                               ; =>This Inner Loop Header: Depth=1
	v_readfirstlane_b32 s8, v0
	v_readfirstlane_b32 s9, v1
	;; [unrolled: 1-line block ×4, first 2 shown]
	v_cmp_eq_u64_e32 vcc, s[8:9], v[0:1]
	v_cmp_eq_u64_e64 s[4:5], s[10:11], v[2:3]
	s_and_b64 s[4:5], vcc, s[4:5]
	s_and_saveexec_b64 s[4:5], s[4:5]
	s_nop 0
	buffer_load_dwordx4 v[4:7], v8, s[8:11], 0 offen
                                        ; implicit-def: $vgpr0_vgpr1_vgpr2_vgpr3
	s_xor_b64 exec, exec, s[4:5]
	s_cbranch_execnz .LBB4_45
; %bb.46:
	s_mov_b64 exec, s[6:7]
	v_add_u32_e32 v0, 7, v10
	flat_store_dword v[40:41], v0 offset:452
	v_add_u32_e32 v0, 7, v9
	s_waitcnt vmcnt(0)
	flat_store_dwordx4 v[40:41], v[4:7] offset:96
	flat_store_dword v[40:41], v0 offset:436
	flat_load_dword v0, v[42:43] offset:8
	s_mov_b64 s[6:7], exec
	s_waitcnt vmcnt(0) lgkmcnt(0)
	v_add_u32_e32 v8, v0, v8
	flat_store_dword v[40:41], v8 offset:432
	flat_load_dwordx4 v[0:3], v[118:119]
	s_waitcnt vmcnt(0) lgkmcnt(0)
	v_mov_b32_e32 v3, 1
	flat_store_byte v[40:41], v3 offset:256
	v_mov_b32_e32 v3, s12
.LBB4_47:                               ; =>This Inner Loop Header: Depth=1
	v_readfirstlane_b32 s8, v0
	v_readfirstlane_b32 s9, v1
	;; [unrolled: 1-line block ×4, first 2 shown]
	v_cmp_eq_u64_e32 vcc, s[8:9], v[0:1]
	v_cmp_eq_u64_e64 s[4:5], s[10:11], v[2:3]
	s_and_b64 s[4:5], vcc, s[4:5]
	s_and_saveexec_b64 s[4:5], s[4:5]
	s_nop 0
	buffer_load_dwordx4 v[4:7], v8, s[8:11], 0 offen
                                        ; implicit-def: $vgpr0_vgpr1_vgpr2_vgpr3
                                        ; implicit-def: $vgpr8
	s_xor_b64 exec, exec, s[4:5]
	s_cbranch_execnz .LBB4_47
; %bb.48:
	s_mov_b64 exec, s[6:7]
	v_accvgpr_read_b32 v0, a32
	s_waitcnt vmcnt(0)
	flat_store_dwordx4 v[40:41], v[4:7] offset:112
	v_accvgpr_read_b32 v1, a33
	flat_load_dwordx3 v[0:2], v[0:1]
	s_nop 0
	flat_load_dwordx3 v[4:6], v[46:47] offset:700
	s_waitcnt vmcnt(0) lgkmcnt(0)
	v_add_u32_e32 v1, -15, v1
	v_add_u32_e32 v5, v5, v2
	v_cmp_ne_u32_e32 vcc, 0, v1
	v_add_u32_e32 v6, v6, v1
	v_add_u32_e32 v4, v4, v0
	flat_store_dwordx3 v[46:47], v[4:6] offset:700
	s_and_saveexec_b64 s[4:5], vcc
	s_cbranch_execz .LBB4_50
; %bb.49:
	flat_load_dword v3, v[46:47] offset:692
	s_waitcnt vmcnt(0) lgkmcnt(0)
	v_add_u32_e32 v3, v3, v1
	flat_store_dword v[46:47], v3 offset:692
.LBB4_50:
	s_or_b64 exec, exec, s[4:5]
	v_or_b32_e32 v3, v2, v0
	v_cmp_ne_u32_e32 vcc, 0, v3
	v_mov_b32_e32 v4, 0
	s_and_saveexec_b64 s[4:5], vcc
	s_cbranch_execz .LBB4_52
; %bb.51:
	flat_load_dword v4, v[58:59] offset:24
	flat_load_dword v6, v[46:47] offset:696
	s_waitcnt vmcnt(0) lgkmcnt(0)
	v_mad_u64_u32 v[4:5], s[6:7], v4, v0, v[2:3]
	v_add_u32_e32 v0, v4, v6
	flat_store_dword v[46:47], v0 offset:696
.LBB4_52:
	s_or_b64 exec, exec, s[4:5]
	v_or_b32_e32 v0, v3, v1
	v_cmp_ne_u32_e32 vcc, 0, v0
	s_and_saveexec_b64 s[4:5], vcc
	s_cbranch_execz .LBB4_54
; %bb.53:
	flat_load_dword v0, v[58:59] offset:8
	flat_load_dword v2, v[46:47] offset:688
	s_waitcnt vmcnt(0) lgkmcnt(0)
	v_mul_lo_u32 v0, v0, v1
	v_add3_u32 v0, v2, v4, v0
	flat_store_dword v[46:47], v0 offset:688
.LBB4_54:
	s_or_b64 exec, exec, s[4:5]
	v_accvgpr_read_b32 v0, a30
	v_accvgpr_read_b32 v1, a31
	flat_load_dwordx3 v[0:2], v[0:1]
	s_nop 0
	flat_load_dwordx3 v[4:6], v[40:41] offset:444
	s_waitcnt vmcnt(0) lgkmcnt(0)
	v_add_u32_e32 v1, -7, v1
	v_add_u32_e32 v5, v5, v2
	v_cmp_ne_u32_e32 vcc, 0, v1
	v_add_u32_e32 v6, v6, v1
	v_add_u32_e32 v4, v4, v0
	flat_store_dwordx3 v[40:41], v[4:6] offset:444
	s_and_saveexec_b64 s[4:5], vcc
	s_cbranch_execz .LBB4_56
; %bb.55:
	flat_load_dword v3, v[40:41] offset:436
	s_waitcnt vmcnt(0) lgkmcnt(0)
	v_add_u32_e32 v3, v3, v1
	flat_store_dword v[40:41], v3 offset:436
.LBB4_56:
	s_or_b64 exec, exec, s[4:5]
	v_or_b32_e32 v3, v2, v0
	v_cmp_ne_u32_e32 vcc, 0, v3
	v_mov_b32_e32 v4, 0
	s_and_saveexec_b64 s[4:5], vcc
	s_cbranch_execz .LBB4_58
; %bb.57:
	flat_load_dword v4, v[42:43] offset:24
	flat_load_dword v6, v[40:41] offset:440
	s_waitcnt vmcnt(0) lgkmcnt(0)
	v_mad_u64_u32 v[4:5], s[6:7], v4, v0, v[2:3]
	v_add_u32_e32 v0, v4, v6
	flat_store_dword v[40:41], v0 offset:440
.LBB4_58:
	s_or_b64 exec, exec, s[4:5]
	v_or_b32_e32 v0, v3, v1
	s_mov_b32 s16, 0
	v_cmp_ne_u32_e32 vcc, 0, v0
	s_and_saveexec_b64 s[4:5], vcc
	s_cbranch_execz .LBB4_60
; %bb.59:
	flat_load_dword v0, v[42:43] offset:8
	flat_load_dword v2, v[40:41] offset:432
	s_waitcnt vmcnt(0) lgkmcnt(0)
	v_mul_lo_u32 v0, v0, v1
	v_add3_u32 v0, v2, v4, v0
	flat_store_dword v[40:41], v0 offset:432
.LBB4_60:
	s_or_b64 exec, exec, s[4:5]
	v_mov_b32_e32 v0, v46
	v_mov_b32_e32 v1, v47
	;; [unrolled: 1-line block ×4, first 2 shown]
	s_getpc_b64 s[4:5]
	s_add_u32 s4, s4, _ZN2ck35ThreadGroupTensorSliceTransfer_v4r1INS_15ThisThreadBlockILi64EEENS_16tensor_operation12element_wise11PassThroughES5_LNS_25InMemoryDataOperationEnumE0ENS_8SequenceIJLi32ELi32ELi8EEEENS7_IJLi32ELi2ELi1EEEENS7_IJLi1ELi0ELi2EEEEDF16_DF16_RKNS_16TensorDescriptorINS_5TupleIJNS_5EmbedINSC_IJiiEEENSC_IJiNS_17integral_constantIiLi1EEEEEELb0EEENS_7UnMergeISE_Lb0EEENS_11PassThroughIiEEEEENSC_IJNS7_IJLi0EEEENS7_IJLi2EEEENS7_IJLi1EEEEEEENSC_IJNS7_IJLi1ELi2EEEENS7_IJLi3ELi4EEEENS7_IJLi5EEEEEEENS7_IJLi3ELi5ELi4EEEElEEKNSB_INSC_IJNSD_INSC_IJNSF_IiLi32EEES10_NSF_IiLi8EEEEEENSC_IJS11_NSF_IiLi256EEESG_EEELb0EEENS_3XorINSC_IJS10_S10_EEELb1EEENSL_IS11_EENSJ_INSC_IJS10_SG_EEELb0EEENSL_IS10_EES19_S1C_NS_21Merge_v3_division_modIS1A_EES19_EEENSC_IJSO_NS7_IJLi2ELi1EEEENS7_IJLi3EEEESU_NS7_IJLi4EEEENS7_IJLi6EEEENS7_IJLi7EEEENS7_IJLi9ELi8EEEENS7_IJLi10EEEEEEENSC_IJNS7_IJLi1ELi2ELi3EEEENS7_IJLi4ELi5EEEES1J_NS7_IJLi7ELi8EEEENS7_IJLi9EEEES1M_NS7_IJLi11EEEENS7_IJLi12EEEENS7_IJLi13EEEEEEENS7_IJLi11ELi12ELi13EEEENSF_IlLl8192EEEEESA_NS7_IJLi0ELi1ELi2EEEELi2ELi2ELi8ELi8ELi1ELi1ELb0ELb1ELi1EiE8RunWriteINS_13DynamicBufferILNS_16AddressSpaceEnumE2EDF16_S1X_Lb1ELNS_22AmdBufferCoherenceEnumE0EiEELi0EEEvRS1Z_RT_NSF_IiXT0_EEE@rel32@lo+4
	s_addc_u32 s5, s5, _ZN2ck35ThreadGroupTensorSliceTransfer_v4r1INS_15ThisThreadBlockILi64EEENS_16tensor_operation12element_wise11PassThroughES5_LNS_25InMemoryDataOperationEnumE0ENS_8SequenceIJLi32ELi32ELi8EEEENS7_IJLi32ELi2ELi1EEEENS7_IJLi1ELi0ELi2EEEEDF16_DF16_RKNS_16TensorDescriptorINS_5TupleIJNS_5EmbedINSC_IJiiEEENSC_IJiNS_17integral_constantIiLi1EEEEEELb0EEENS_7UnMergeISE_Lb0EEENS_11PassThroughIiEEEEENSC_IJNS7_IJLi0EEEENS7_IJLi2EEEENS7_IJLi1EEEEEEENSC_IJNS7_IJLi1ELi2EEEENS7_IJLi3ELi4EEEENS7_IJLi5EEEEEEENS7_IJLi3ELi5ELi4EEEElEEKNSB_INSC_IJNSD_INSC_IJNSF_IiLi32EEES10_NSF_IiLi8EEEEEENSC_IJS11_NSF_IiLi256EEESG_EEELb0EEENS_3XorINSC_IJS10_S10_EEELb1EEENSL_IS11_EENSJ_INSC_IJS10_SG_EEELb0EEENSL_IS10_EES19_S1C_NS_21Merge_v3_division_modIS1A_EES19_EEENSC_IJSO_NS7_IJLi2ELi1EEEENS7_IJLi3EEEESU_NS7_IJLi4EEEENS7_IJLi6EEEENS7_IJLi7EEEENS7_IJLi9ELi8EEEENS7_IJLi10EEEEEEENSC_IJNS7_IJLi1ELi2ELi3EEEENS7_IJLi4ELi5EEEES1J_NS7_IJLi7ELi8EEEENS7_IJLi9EEEES1M_NS7_IJLi11EEEENS7_IJLi12EEEENS7_IJLi13EEEEEEENS7_IJLi11ELi12ELi13EEEENSF_IlLl8192EEEEESA_NS7_IJLi0ELi1ELi2EEEELi2ELi2ELi8ELi8ELi1ELi1ELb0ELb1ELi1EiE8RunWriteINS_13DynamicBufferILNS_16AddressSpaceEnumE2EDF16_S1X_Lb1ELNS_22AmdBufferCoherenceEnumE0EiEELi0EEEvRS1Z_RT_NSF_IiXT0_EEE@rel32@hi+12
	s_swappc_b64 s[30:31], s[4:5]
	flat_load_ubyte v32, v[40:41] offset:176
	flat_load_ubyte v33, v[40:41] offset:192
	;; [unrolled: 1-line block ×6, first 2 shown]
	flat_load_dwordx4 v[28:31], v[40:41] offset:32
	flat_load_dwordx4 v[24:27], v[40:41] offset:48
	;; [unrolled: 1-line block ×6, first 2 shown]
	flat_load_ubyte v38, v[40:41] offset:144
	flat_load_ubyte v39, v[40:41] offset:160
	flat_load_dwordx4 v[0:3], v[40:41]
	flat_load_dwordx4 v[4:7], v[40:41] offset:16
	flat_load_dword v48, v[40:41] offset:456
	s_mov_b32 s20, 0x3060504
	s_mov_b32 s21, 0x3020104
	v_mov_b32_e32 v124, 8
	v_mov_b32_e32 v62, 0
	s_mov_b32 s17, s16
	s_mov_b32 s18, s16
	;; [unrolled: 1-line block ×3, first 2 shown]
	s_mov_b64 s[14:15], 0
	s_mov_b32 s22, 0x20000
	s_movk_i32 s23, 0xff
	s_movk_i32 s24, 0x7f
	;; [unrolled: 1-line block ×3, first 2 shown]
	s_mov_b32 s26, 0x70605
	s_mov_b32 s27, 0x60504
	v_mov_b32_e32 v125, 1
	v_mov_b32_e32 v126, 0x3b800000
	;; [unrolled: 1-line block ×5, first 2 shown]
	s_waitcnt vmcnt(0) lgkmcnt(0)
	v_and_b32_e32 v32, 1, v32
	v_and_b32_e32 v33, 1, v33
	v_and_b32_e32 v34, 1, v34
	v_and_b32_e32 v35, 1, v35
	v_and_b32_e32 v36, 1, v36
	v_and_b32_e32 v37, 1, v37
	v_cmp_eq_u32_e32 vcc, 1, v32
	v_cmp_eq_u32_e64 s[6:7], 1, v34
	v_cmp_eq_u32_e64 s[8:9], 1, v35
	;; [unrolled: 1-line block ×3, first 2 shown]
	v_cndmask_b32_e32 v31, 0, v31, vcc
	v_cmp_eq_u32_e64 s[4:5], 1, v33
	v_cndmask_b32_e64 v23, 0, v23, s[6:7]
	v_cndmask_b32_e64 v19, 0, v19, s[8:9]
	;; [unrolled: 1-line block ×3, first 2 shown]
	v_cmp_eq_u32_e64 s[12:13], 1, v37
	v_cndmask_b32_e32 v30, 0, v30, vcc
	v_cndmask_b32_e32 v29, 0, v29, vcc
	;; [unrolled: 1-line block ×3, first 2 shown]
	v_cndmask_b32_e64 v22, 0, v22, s[6:7]
	v_cndmask_b32_e64 v21, 0, v21, s[6:7]
	;; [unrolled: 1-line block ×14, first 2 shown]
	flat_store_dwordx4 v[40:41], v[28:31] offset:32
	flat_store_dwordx4 v[40:41], v[24:27] offset:48
	;; [unrolled: 1-line block ×4, first 2 shown]
	v_cndmask_b32_e64 v10, 0, v10, s[12:13]
	flat_store_dwordx4 v[40:41], v[12:15] offset:96
	v_cndmask_b32_e64 v9, 0, v9, s[12:13]
	v_cndmask_b32_e64 v8, 0, v8, s[12:13]
	flat_load_dwordx4 v[24:27], v[40:41] offset:33
	flat_load_dwordx4 v[20:23], v[40:41] offset:49
	;; [unrolled: 1-line block ×4, first 2 shown]
	v_and_b32_e32 v29, 1, v39
	flat_store_dwordx4 v[40:41], v[8:11] offset:112
	flat_load_dwordx4 v[8:11], v[40:41] offset:97
	s_nop 0
	flat_load_ushort v34, v[40:41] offset:125
	flat_load_dwordx2 v[32:33], v[40:41] offset:113
	flat_load_sbyte v35, v[40:41] offset:127
	flat_load_dword v36, v[40:41] offset:121
	v_cmp_eq_u32_e32 vcc, 1, v29
	v_cndmask_b32_e32 v7, 0, v7, vcc
	v_cndmask_b32_e32 v6, 0, v6, vcc
	;; [unrolled: 1-line block ×4, first 2 shown]
	v_and_b32_e32 v29, 1, v38
	s_mov_b32 s4, 0x2010007
	s_mov_b32 s5, 0x2010004
	flat_store_dwordx4 v[40:41], v[4:7] offset:16
	v_cmp_eq_u32_e32 vcc, 1, v29
	v_perm_b32 v7, v7, v7, s20
	v_perm_b32 v6, v6, v6, s21
	;; [unrolled: 1-line block ×3, first 2 shown]
	flat_store_dwordx4 v[40:41], v[4:7] offset:304
	v_cndmask_b32_e32 v3, 0, v3, vcc
	v_cndmask_b32_e32 v2, 0, v2, vcc
	;; [unrolled: 1-line block ×4, first 2 shown]
	flat_store_dwordx4 v[40:41], v[0:3]
	flat_store_dwordx4 v[40:41], v[0:3] offset:288
	s_waitcnt vmcnt(0) lgkmcnt(0)
	v_perm_b32 v7, v26, v27, s4
	v_perm_b32 v6, v25, v26, s4
	;; [unrolled: 1-line block ×13, first 2 shown]
	v_lshrrev_b32_sdwa v12, v124, v34 dst_sel:DWORD dst_unused:UNUSED_PAD src0_sel:DWORD src1_sel:WORD_0
	v_lshlrev_b16_e32 v13, 8, v34
	v_lshlrev_b16_e32 v14, 8, v35
	v_perm_b32 v27, v18, v19, s4
	v_perm_b32 v26, v17, v18, s4
	;; [unrolled: 1-line block ×7, first 2 shown]
	flat_store_dwordx4 v[40:41], v[4:7] offset:320
	flat_store_dwordx4 v[40:41], v[28:31] offset:336
	;; [unrolled: 1-line block ×5, first 2 shown]
	v_or_b32_sdwa v4, v36, v13 dst_sel:DWORD dst_unused:UNUSED_PAD src0_sel:BYTE_3 src1_sel:DWORD
	v_or_b32_sdwa v5, v12, v14 dst_sel:WORD_1 dst_unused:UNUSED_PAD src0_sel:DWORD src1_sel:DWORD
	v_perm_b32 v10, v33, v36, s4
	v_perm_b32 v9, v32, v33, s4
	;; [unrolled: 1-line block ×3, first 2 shown]
	v_or_b32_sdwa v11, v4, v5 dst_sel:DWORD dst_unused:UNUSED_PAD src0_sel:WORD_0 src1_sel:DWORD
	flat_store_dwordx4 v[40:41], v[8:11] offset:400
	flat_load_dwordx2 v[4:5], v[112:113]
	v_ashrrev_i32_e32 v6, 31, v48
	s_movk_i32 s4, 0x118
	v_add_u32_e32 v12, -1, v60
	v_max_i32_e32 v45, 1, v12
	v_mov_b32_e32 v60, 11
	s_waitcnt vmcnt(0) lgkmcnt(0)
	v_add_co_u32_e32 v4, vcc, v4, v48
	v_addc_co_u32_e32 v5, vcc, v5, v6, vcc
	flat_store_dwordx4 v[4:5], v[0:3]
	flat_load_dword v7, v[40:41] offset:504
	flat_load_dwordx2 v[8:9], v[40:41] offset:488
	flat_load_dwordx2 v[10:11], v[40:41] offset:472
	s_nop 0
	flat_load_dwordx3 v[4:6], v[40:41] offset:456
	flat_load_dwordx4 v[0:3], v[40:41] offset:304
	s_waitcnt vmcnt(0) lgkmcnt(0)
	v_add_u32_e32 v63, 1, v7
	v_sub_u32_e32 v7, v63, v9
	v_add_u32_e32 v10, v10, v7
	v_ashrrev_i32_e32 v7, 31, v10
	v_lshrrev_b32_e32 v7, 28, v7
	v_add_u32_e32 v7, v10, v7
	v_and_b32_e32 v7, -16, v7
	v_sub_u32_e32 v11, v11, v8
	v_sub_u32_e32 v7, v10, v7
	v_xor_b32_e32 v7, v11, v7
	v_sub_u32_e32 v6, v10, v6
	v_sub_u32_e32 v5, v7, v5
	v_lshlrev_b32_e32 v6, 8, v6
	v_lshlrev_b32_e32 v5, 4, v5
	v_mov_b32_e32 v8, v10
	v_add3_u32 v6, v6, v5, v4
	flat_store_dword v[40:41], v63 offset:504
	flat_store_dwordx2 v[40:41], v[62:63] offset:488
	flat_store_dwordx2 v[40:41], v[10:11] offset:472
	flat_store_dwordx3 v[40:41], v[6:8] offset:456
	flat_load_dwordx2 v[4:5], v[112:113]
	v_ashrrev_i32_e32 v7, 31, v6
	s_waitcnt vmcnt(0) lgkmcnt(0)
	v_add_co_u32_e32 v4, vcc, v4, v6
	v_addc_co_u32_e32 v5, vcc, v5, v7, vcc
	flat_store_dwordx4 v[4:5], v[0:3]
	flat_load_dword v7, v[40:41] offset:504
	flat_load_dwordx2 v[8:9], v[40:41] offset:488
	flat_load_dwordx2 v[10:11], v[40:41] offset:472
	s_nop 0
	flat_load_dwordx3 v[4:6], v[40:41] offset:456
	flat_load_dwordx4 v[0:3], v[40:41] offset:320
	s_waitcnt vmcnt(0) lgkmcnt(0)
	v_add_u32_e32 v63, 1, v7
	v_sub_u32_e32 v7, v63, v9
	v_add_u32_e32 v10, v10, v7
	v_ashrrev_i32_e32 v7, 31, v10
	v_lshrrev_b32_e32 v7, 28, v7
	v_add_u32_e32 v7, v10, v7
	v_and_b32_e32 v7, -16, v7
	v_sub_u32_e32 v11, v11, v8
	v_sub_u32_e32 v7, v10, v7
	v_xor_b32_e32 v7, v11, v7
	v_sub_u32_e32 v6, v10, v6
	v_sub_u32_e32 v5, v7, v5
	v_lshlrev_b32_e32 v6, 8, v6
	v_lshlrev_b32_e32 v5, 4, v5
	v_mov_b32_e32 v8, v10
	v_add3_u32 v6, v6, v5, v4
	flat_store_dword v[40:41], v63 offset:504
	flat_store_dwordx2 v[40:41], v[62:63] offset:488
	flat_store_dwordx2 v[40:41], v[10:11] offset:472
	flat_store_dwordx3 v[40:41], v[6:8] offset:456
	flat_load_dwordx2 v[4:5], v[112:113]
	v_ashrrev_i32_e32 v7, 31, v6
	;; [unrolled: 33-line block ×7, first 2 shown]
	s_waitcnt vmcnt(0) lgkmcnt(0)
	v_add_co_u32_e32 v4, vcc, v4, v6
	v_addc_co_u32_e32 v5, vcc, v5, v7, vcc
	flat_store_dwordx4 v[4:5], v[0:3]
	flat_load_dword v7, v[40:41] offset:504
	flat_load_dwordx2 v[8:9], v[40:41] offset:488
	flat_load_dwordx2 v[10:11], v[40:41] offset:472
	s_nop 0
	flat_load_dwordx3 v[4:6], v[40:41] offset:456
	v_pk_mov_b32 v[0:1], s[16:17], s[16:17] op_sel:[0,1]
	v_pk_mov_b32 v[2:3], s[18:19], s[18:19] op_sel:[0,1]
	flat_store_dwordx4 v[100:101], v[0:3]
	flat_store_dwordx4 v[100:101], v[0:3] offset:16
	flat_store_dwordx4 v[100:101], v[0:3] offset:32
	;; [unrolled: 1-line block ×3, first 2 shown]
	v_add_co_u32_e32 v14, vcc, s4, v102
	v_addc_co_u32_e32 v15, vcc, 0, v103, vcc
	v_accvgpr_write_b32 a35, v15
	v_accvgpr_write_b32 a34, v14
	s_waitcnt vmcnt(0) lgkmcnt(0)
	v_add_u32_e32 v63, -7, v7
	v_sub_u32_e32 v0, v63, v9
	v_add_u32_e32 v0, v10, v0
	v_ashrrev_i32_e32 v3, 31, v0
	v_lshrrev_b32_e32 v3, 28, v3
	v_add_u32_e32 v3, v0, v3
	v_sub_u32_e32 v1, v11, v8
	v_and_b32_e32 v3, -16, v3
	flat_store_dwordx2 v[40:41], v[0:1] offset:472
	v_sub_u32_e32 v6, v0, v6
	v_mov_b32_e32 v2, v0
	v_sub_u32_e32 v0, v0, v3
	v_xor_b32_e32 v1, v1, v0
	v_sub_u32_e32 v0, v1, v5
	v_lshlrev_b32_e32 v6, 8, v6
	v_lshlrev_b32_e32 v0, 4, v0
	v_add3_u32 v0, v6, v0, v4
	flat_store_dword v[40:41], v63 offset:504
	flat_store_dwordx2 v[40:41], v[62:63] offset:488
	flat_store_dwordx3 v[40:41], v[0:2] offset:456
	s_branch .LBB4_62
.LBB4_61:                               ;   in Loop: Header=BB4_62 Depth=1
	s_or_b64 exec, exec, s[6:7]
	v_cvt_pkrtz_f16_f32 v0, v0, v1
	v_cvt_pkrtz_f16_f32 v1, v2, v3
	;; [unrolled: 1-line block ×8, first 2 shown]
	buffer_store_dword v1, off, s[0:3], s33 offset:228
	buffer_store_dword v0, off, s[0:3], s33 offset:224
	;; [unrolled: 1-line block ×8, first 2 shown]
	; sched_barrier mask(0x00000000)
	; wave barrier
	; sched_barrier mask(0x00000000)
	flat_load_dwordx4 a[12:15], v[100:101]
	s_nop 0
	buffer_load_dword v0, off, s[0:3], s33
	buffer_load_dword v1, off, s[0:3], s33 offset:4
	buffer_load_dword v2, off, s[0:3], s33 offset:8
	;; [unrolled: 1-line block ×7, first 2 shown]
	s_waitcnt vmcnt(0) lgkmcnt(0)
	v_mfma_f32_16x16x16f16 a[12:15], v[28:29], v[0:1], a[12:15]
	v_mfma_f32_16x16x16f16 a[12:15], v[30:31], v[2:3], a[12:15]
	;; [unrolled: 1-line block ×4, first 2 shown]
	s_nop 7
	s_nop 2
	flat_store_dwordx4 v[100:101], a[12:15]
	; sched_barrier mask(0x00000000)
	s_setprio 1
	; sched_barrier mask(0x00000000)
	flat_load_dwordx4 a[12:15], v[100:101] offset:16
	flat_load_dwordx4 a[16:19], v[100:101] offset:32
	flat_load_dwordx4 a[20:23], v[100:101]
	flat_load_dwordx4 a[24:27], v[100:101] offset:48
	s_waitcnt vmcnt(0) lgkmcnt(0)
	v_mfma_f32_16x16x16f16 a[12:15], v[28:29], v[94:95], a[12:15]
	v_mfma_f32_16x16x16f16 a[16:19], v[84:85], v[0:1], a[16:19]
	buffer_load_dword v0, off, s[0:3], s33 offset:32
	buffer_load_dword v1, off, s[0:3], s33 offset:36
	;; [unrolled: 1-line block ×8, first 2 shown]
	v_mfma_f32_16x16x16f16 a[16:19], v[86:87], v[2:3], a[16:19]
	v_mfma_f32_16x16x16f16 a[16:19], v[80:81], v[4:5], a[16:19]
	;; [unrolled: 1-line block ×8, first 2 shown]
	s_waitcnt vmcnt(6)
	v_mfma_f32_16x16x16f16 a[20:23], v[20:21], v[0:1], a[20:23]
	v_mfma_f32_16x16x16f16 a[16:19], v[68:69], v[0:1], a[16:19]
	buffer_load_dword v0, off, s[0:3], s33 offset:64
	buffer_load_dword v1, off, s[0:3], s33 offset:68
	;; [unrolled: 1-line block ×8, first 2 shown]
	s_waitcnt vmcnt(12)
	v_mfma_f32_16x16x16f16 a[20:23], v[22:23], v[8:9], a[20:23]
	s_waitcnt vmcnt(10)
	v_mfma_f32_16x16x16f16 a[20:23], v[16:17], v[10:11], a[20:23]
	v_mfma_f32_16x16x16f16 a[12:15], v[16:17], v[104:105], a[12:15]
	s_waitcnt vmcnt(8)
	v_mfma_f32_16x16x16f16 a[20:23], v[18:19], v[28:29], a[20:23]
	v_mfma_f32_16x16x16f16 a[12:15], v[18:19], v[78:79], a[12:15]
	;; [unrolled: 1-line block ×4, first 2 shown]
	s_waitcnt vmcnt(6)
	v_mfma_f32_16x16x16f16 a[20:23], v[12:13], v[0:1], a[20:23]
	v_mfma_f32_16x16x16f16 a[16:19], v[64:65], v[10:11], a[16:19]
	s_waitcnt vmcnt(4)
	v_mfma_f32_16x16x16f16 a[20:23], v[14:15], v[2:3], a[20:23]
	v_mfma_f32_16x16x16f16 a[12:15], v[14:15], v[120:121], a[12:15]
	;; [unrolled: 1-line block ×3, first 2 shown]
	s_waitcnt vmcnt(2)
	v_mfma_f32_16x16x16f16 a[20:23], a[8:9], v[4:5], a[20:23]
	v_mfma_f32_16x16x16f16 a[12:15], a[8:9], v[122:123], a[12:15]
	s_waitcnt vmcnt(0)
	v_mfma_f32_16x16x16f16 a[20:23], a[10:11], v[6:7], a[20:23]
	v_mfma_f32_16x16x16f16 a[8:11], a[10:11], v[76:77], a[12:15]
	;; [unrolled: 1-line block ×3, first 2 shown]
	buffer_load_dword v0, off, s[0:3], s33 offset:216
	buffer_load_dword v8, off, s[0:3], s33 offset:208
	;; [unrolled: 1-line block ×8, first 2 shown]
	v_mfma_f32_16x16x16f16 a[24:27], v[84:85], v[94:95], a[24:27]
	v_mfma_f32_16x16x16f16 a[24:27], v[86:87], v[92:93], a[24:27]
	;; [unrolled: 1-line block ×8, first 2 shown]
	s_waitcnt vmcnt(3)
	v_mfma_f32_16x16x16f16 a[16:19], v[52:53], v[12:13], a[24:27]
	v_mfma_f32_16x16x16f16 a[12:15], v[54:55], v[2:3], a[12:15]
	buffer_load_dword v2, off, s[0:3], s33 offset:96
	buffer_load_dword v3, off, s[0:3], s33 offset:100
	s_waitcnt vmcnt(4)
	v_mfma_f32_16x16x16f16 a[16:19], v[54:55], v[10:11], a[16:19]
	v_mfma_f32_16x16x16f16 a[12:15], v[48:49], v[4:5], a[12:15]
	buffer_load_dword v4, off, s[0:3], s33 offset:104
	buffer_load_dword v5, off, s[0:3], s33 offset:108
	;; [unrolled: 5-line block ×3, first 2 shown]
	s_waitcnt vmcnt(6)
	v_mfma_f32_16x16x16f16 a[16:19], v[50:51], v[0:1], a[16:19]
	buffer_load_dword v0, off, s[0:3], s33 offset:120
	buffer_load_dword v1, off, s[0:3], s33 offset:124
	;; [unrolled: 1-line block ×10, first 2 shown]
	s_waitcnt vmcnt(14)
	v_mfma_f32_16x16x16f16 a[20:23], a[4:5], v[2:3], a[20:23]
	s_waitcnt vmcnt(6)
	v_mfma_f32_16x16x16f16 a[8:11], a[4:5], v[8:9], a[8:11]
	v_mfma_f32_16x16x16f16 a[20:23], a[6:7], v[4:5], a[20:23]
	s_waitcnt vmcnt(4)
	v_mfma_f32_16x16x16f16 a[4:7], a[6:7], v[10:11], a[8:11]
	v_mfma_f32_16x16x16f16 a[20:23], a[0:1], v[6:7], a[20:23]
	s_waitcnt vmcnt(2)
	v_mfma_f32_16x16x16f16 a[4:7], a[0:1], v[12:13], a[4:7]
	v_mfma_f32_16x16x16f16 a[20:23], a[2:3], v[0:1], a[20:23]
	s_waitcnt vmcnt(0)
	v_mfma_f32_16x16x16f16 a[0:3], a[2:3], v[14:15], a[4:7]
	flat_store_dwordx4 v[100:101], a[16:19] offset:48
	s_nop 7
	flat_store_dwordx4 v[100:101], a[20:23]
	s_nop 0
	flat_store_dwordx4 v[100:101], a[0:3] offset:16
	v_mfma_f32_16x16x16f16 a[4:7], v[36:37], v[2:3], a[12:15]
	v_mfma_f32_16x16x16f16 a[4:7], v[38:39], v[4:5], a[4:7]
	;; [unrolled: 1-line block ×4, first 2 shown]
	s_nop 7
	s_nop 2
	flat_store_dwordx4 v[100:101], a[0:3] offset:32
	; sched_barrier mask(0x00000000)
	s_waitcnt lgkmcnt(0)
	; wave barrier
	; sched_barrier mask(0x00000000)
	flat_load_dwordx4 a[0:3], v[100:101] offset:48
	s_waitcnt vmcnt(0) lgkmcnt(0)
	v_mfma_f32_16x16x16f16 a[0:3], v[36:37], v[8:9], a[0:3]
	v_mfma_f32_16x16x16f16 a[0:3], v[38:39], v[10:11], a[0:3]
	;; [unrolled: 1-line block ×4, first 2 shown]
	s_nop 7
	s_nop 2
	flat_store_dwordx4 v[100:101], a[0:3] offset:48
	; sched_barrier mask(0x00000000)
	s_setprio 0
	; sched_barrier mask(0x00000000)
	v_accvgpr_read_b32 v79, a29
	v_accvgpr_read_b32 v78, a28
	v_mov_b32_e32 v0, v46
	v_mov_b32_e32 v1, v47
	;; [unrolled: 1-line block ×4, first 2 shown]
	s_getpc_b64 s[4:5]
	s_add_u32 s4, s4, _ZN2ck35ThreadGroupTensorSliceTransfer_v4r1INS_15ThisThreadBlockILi64EEENS_16tensor_operation12element_wise11PassThroughES5_LNS_25InMemoryDataOperationEnumE0ENS_8SequenceIJLi32ELi32ELi8EEEENS7_IJLi32ELi2ELi1EEEENS7_IJLi1ELi0ELi2EEEEDF16_DF16_RKNS_16TensorDescriptorINS_5TupleIJNS_5EmbedINSC_IJiiEEENSC_IJiNS_17integral_constantIiLi1EEEEEELb0EEENS_7UnMergeISE_Lb0EEENS_11PassThroughIiEEEEENSC_IJNS7_IJLi0EEEENS7_IJLi2EEEENS7_IJLi1EEEEEEENSC_IJNS7_IJLi1ELi2EEEENS7_IJLi3ELi4EEEENS7_IJLi5EEEEEEENS7_IJLi3ELi5ELi4EEEElEEKNSB_INSC_IJNSD_INSC_IJNSF_IiLi32EEES10_NSF_IiLi8EEEEEENSC_IJS11_NSF_IiLi256EEESG_EEELb0EEENS_3XorINSC_IJS10_S10_EEELb1EEENSL_IS11_EENSJ_INSC_IJS10_SG_EEELb0EEENSL_IS10_EES19_S1C_NS_21Merge_v3_division_modIS1A_EES19_EEENSC_IJSO_NS7_IJLi2ELi1EEEENS7_IJLi3EEEESU_NS7_IJLi4EEEENS7_IJLi6EEEENS7_IJLi7EEEENS7_IJLi9ELi8EEEENS7_IJLi10EEEEEEENSC_IJNS7_IJLi1ELi2ELi3EEEENS7_IJLi4ELi5EEEES1J_NS7_IJLi7ELi8EEEENS7_IJLi9EEEES1M_NS7_IJLi11EEEENS7_IJLi12EEEENS7_IJLi13EEEEEEENS7_IJLi11ELi12ELi13EEEENSF_IlLl8192EEEEESA_NS7_IJLi0ELi1ELi2EEEELi2ELi2ELi8ELi8ELi1ELi1ELb0ELb1ELi1EiE8RunWriteINS_13DynamicBufferILNS_16AddressSpaceEnumE2EDF16_S1X_Lb1ELNS_22AmdBufferCoherenceEnumE0EiEELi0EEEvRS1Z_RT_NSF_IiXT0_EEE@rel32@lo+4
	s_addc_u32 s5, s5, _ZN2ck35ThreadGroupTensorSliceTransfer_v4r1INS_15ThisThreadBlockILi64EEENS_16tensor_operation12element_wise11PassThroughES5_LNS_25InMemoryDataOperationEnumE0ENS_8SequenceIJLi32ELi32ELi8EEEENS7_IJLi32ELi2ELi1EEEENS7_IJLi1ELi0ELi2EEEEDF16_DF16_RKNS_16TensorDescriptorINS_5TupleIJNS_5EmbedINSC_IJiiEEENSC_IJiNS_17integral_constantIiLi1EEEEEELb0EEENS_7UnMergeISE_Lb0EEENS_11PassThroughIiEEEEENSC_IJNS7_IJLi0EEEENS7_IJLi2EEEENS7_IJLi1EEEEEEENSC_IJNS7_IJLi1ELi2EEEENS7_IJLi3ELi4EEEENS7_IJLi5EEEEEEENS7_IJLi3ELi5ELi4EEEElEEKNSB_INSC_IJNSD_INSC_IJNSF_IiLi32EEES10_NSF_IiLi8EEEEEENSC_IJS11_NSF_IiLi256EEESG_EEELb0EEENS_3XorINSC_IJS10_S10_EEELb1EEENSL_IS11_EENSJ_INSC_IJS10_SG_EEELb0EEENSL_IS10_EES19_S1C_NS_21Merge_v3_division_modIS1A_EES19_EEENSC_IJSO_NS7_IJLi2ELi1EEEENS7_IJLi3EEEESU_NS7_IJLi4EEEENS7_IJLi6EEEENS7_IJLi7EEEENS7_IJLi9ELi8EEEENS7_IJLi10EEEEEEENSC_IJNS7_IJLi1ELi2ELi3EEEENS7_IJLi4ELi5EEEES1J_NS7_IJLi7ELi8EEEENS7_IJLi9EEEES1M_NS7_IJLi11EEEENS7_IJLi12EEEENS7_IJLi13EEEEEEENS7_IJLi11ELi12ELi13EEEENSF_IlLl8192EEEEESA_NS7_IJLi0ELi1ELi2EEEELi2ELi2ELi8ELi8ELi1ELi1ELb0ELb1ELi1EiE8RunWriteINS_13DynamicBufferILNS_16AddressSpaceEnumE2EDF16_S1X_Lb1ELNS_22AmdBufferCoherenceEnumE0EiEELi0EEEvRS1Z_RT_NSF_IiXT0_EEE@rel32@hi+12
	s_swappc_b64 s[30:31], s[4:5]
	flat_load_ubyte v32, v[40:41] offset:176
	flat_load_ubyte v33, v[40:41] offset:192
	;; [unrolled: 1-line block ×6, first 2 shown]
	flat_load_dwordx4 v[16:19], v[40:41] offset:32
	flat_load_dwordx4 v[20:23], v[40:41] offset:48
	;; [unrolled: 1-line block ×6, first 2 shown]
	flat_load_ubyte v38, v[40:41] offset:160
	flat_load_ubyte v39, v[40:41] offset:144
	flat_load_dwordx4 v[0:3], v[40:41]
	flat_load_dwordx4 v[4:7], v[40:41] offset:16
	flat_load_dword v48, v[40:41] offset:456
	v_add_u32_e32 v45, -1, v45
	s_waitcnt vmcnt(0) lgkmcnt(0)
	v_and_b32_e32 v32, 1, v32
	v_and_b32_e32 v33, 1, v33
	;; [unrolled: 1-line block ×6, first 2 shown]
	v_cmp_eq_u32_e32 vcc, 1, v32
	v_cndmask_b32_e32 v19, 0, v19, vcc
	v_cmp_eq_u32_e64 s[4:5], 1, v33
	v_cmp_eq_u32_e64 s[6:7], 1, v34
	;; [unrolled: 1-line block ×5, first 2 shown]
	v_cndmask_b32_e32 v18, 0, v18, vcc
	v_cndmask_b32_e32 v17, 0, v17, vcc
	;; [unrolled: 1-line block ×3, first 2 shown]
	v_cndmask_b32_e64 v23, 0, v23, s[4:5]
	v_cndmask_b32_e64 v27, 0, v27, s[6:7]
	;; [unrolled: 1-line block ×12, first 2 shown]
	flat_store_dwordx4 v[40:41], v[16:19] offset:32
	flat_store_dwordx4 v[40:41], v[20:23] offset:48
	v_cndmask_b32_e64 v29, 0, v29, s[8:9]
	v_cndmask_b32_e64 v28, 0, v28, s[8:9]
	;; [unrolled: 1-line block ×8, first 2 shown]
	flat_load_dwordx4 v[20:23], v[40:41] offset:43
	v_and_b32_e32 v19, 1, v38
	flat_store_dwordx4 v[40:41], v[24:27] offset:64
	flat_load_dwordx4 v[24:27], v[40:41] offset:59
	v_cmp_eq_u32_e32 vcc, 1, v19
	flat_store_dwordx4 v[40:41], v[28:31] offset:80
	flat_store_dwordx4 v[40:41], v[12:15] offset:96
	;; [unrolled: 1-line block ×3, first 2 shown]
	flat_load_dwordx4 v[28:31], v[40:41] offset:75
	v_and_b32_e32 v19, 1, v39
	flat_load_dwordx4 v[12:15], v[40:41] offset:91
	flat_load_dwordx4 v[8:11], v[40:41] offset:107
	flat_load_dword v32, v[40:41] offset:123
	flat_load_sbyte v33, v[40:41] offset:127
	v_cndmask_b32_e32 v7, 0, v7, vcc
	v_cndmask_b32_e32 v6, 0, v6, vcc
	;; [unrolled: 1-line block ×4, first 2 shown]
	v_cmp_eq_u32_e32 vcc, 1, v19
	flat_store_dwordx4 v[40:41], v[4:7] offset:16
	v_cndmask_b32_e32 v3, 0, v3, vcc
	v_perm_b32 v7, v7, v7, s20
	v_perm_b32 v6, v6, v6, s21
	;; [unrolled: 1-line block ×3, first 2 shown]
	v_cndmask_b32_e32 v2, 0, v2, vcc
	v_cndmask_b32_e32 v1, 0, v1, vcc
	;; [unrolled: 1-line block ×3, first 2 shown]
	flat_store_dwordx4 v[40:41], v[4:7] offset:304
	flat_store_dwordx4 v[40:41], v[0:3]
	flat_store_dwordx4 v[40:41], v[0:3] offset:288
	s_waitcnt vmcnt(0) lgkmcnt(0)
	v_perm_b32 v19, v20, v21, s26
	v_perm_b32 v18, v18, v20, s27
	;; [unrolled: 1-line block ×22, first 2 shown]
	flat_store_dwordx4 v[40:41], v[16:19] offset:320
	flat_store_dwordx4 v[40:41], v[4:7] offset:336
	;; [unrolled: 1-line block ×6, first 2 shown]
	flat_load_dwordx2 v[4:5], v[112:113]
	v_ashrrev_i32_e32 v6, 31, v48
	s_waitcnt vmcnt(0) lgkmcnt(0)
	v_add_co_u32_e32 v4, vcc, v4, v48
	v_addc_co_u32_e32 v5, vcc, v5, v6, vcc
	flat_store_dwordx4 v[4:5], v[0:3]
	flat_load_dword v7, v[40:41] offset:504
	flat_load_dwordx2 v[8:9], v[40:41] offset:488
	flat_load_dwordx2 v[10:11], v[40:41] offset:472
	s_nop 0
	flat_load_dwordx3 v[4:6], v[40:41] offset:456
	flat_load_dwordx4 v[0:3], v[40:41] offset:304
	s_waitcnt vmcnt(0) lgkmcnt(0)
	v_add_u32_e32 v63, 1, v7
	v_sub_u32_e32 v7, v63, v9
	v_add_u32_e32 v10, v10, v7
	v_ashrrev_i32_e32 v7, 31, v10
	v_lshrrev_b32_e32 v7, 28, v7
	v_add_u32_e32 v7, v10, v7
	v_and_b32_e32 v7, -16, v7
	v_sub_u32_e32 v11, v11, v8
	v_sub_u32_e32 v7, v10, v7
	v_xor_b32_e32 v7, v11, v7
	v_sub_u32_e32 v6, v10, v6
	v_sub_u32_e32 v5, v7, v5
	v_lshlrev_b32_e32 v6, 8, v6
	v_lshlrev_b32_e32 v5, 4, v5
	v_mov_b32_e32 v8, v10
	v_add3_u32 v6, v6, v5, v4
	flat_store_dword v[40:41], v63 offset:504
	flat_store_dwordx2 v[40:41], v[62:63] offset:488
	flat_store_dwordx2 v[40:41], v[10:11] offset:472
	flat_store_dwordx3 v[40:41], v[6:8] offset:456
	flat_load_dwordx2 v[4:5], v[112:113]
	v_ashrrev_i32_e32 v7, 31, v6
	s_waitcnt vmcnt(0) lgkmcnt(0)
	v_add_co_u32_e32 v4, vcc, v4, v6
	v_addc_co_u32_e32 v5, vcc, v5, v7, vcc
	flat_store_dwordx4 v[4:5], v[0:3]
	flat_load_dword v7, v[40:41] offset:504
	flat_load_dwordx2 v[8:9], v[40:41] offset:488
	flat_load_dwordx2 v[10:11], v[40:41] offset:472
	s_nop 0
	flat_load_dwordx3 v[4:6], v[40:41] offset:456
	flat_load_dwordx4 v[0:3], v[40:41] offset:320
	s_waitcnt vmcnt(0) lgkmcnt(0)
	v_add_u32_e32 v63, 1, v7
	v_sub_u32_e32 v7, v63, v9
	v_add_u32_e32 v10, v10, v7
	v_ashrrev_i32_e32 v7, 31, v10
	v_lshrrev_b32_e32 v7, 28, v7
	v_add_u32_e32 v7, v10, v7
	v_and_b32_e32 v7, -16, v7
	v_sub_u32_e32 v11, v11, v8
	v_sub_u32_e32 v7, v10, v7
	v_xor_b32_e32 v7, v11, v7
	v_sub_u32_e32 v6, v10, v6
	v_sub_u32_e32 v5, v7, v5
	v_lshlrev_b32_e32 v6, 8, v6
	v_lshlrev_b32_e32 v5, 4, v5
	v_mov_b32_e32 v8, v10
	v_add3_u32 v6, v6, v5, v4
	flat_store_dword v[40:41], v63 offset:504
	flat_store_dwordx2 v[40:41], v[62:63] offset:488
	flat_store_dwordx2 v[40:41], v[10:11] offset:472
	flat_store_dwordx3 v[40:41], v[6:8] offset:456
	;; [unrolled: 33-line block ×7, first 2 shown]
	flat_load_dwordx2 v[4:5], v[112:113]
	v_ashrrev_i32_e32 v7, 31, v6
	s_waitcnt vmcnt(0) lgkmcnt(0)
	v_add_co_u32_e32 v4, vcc, v4, v6
	v_addc_co_u32_e32 v5, vcc, v5, v7, vcc
	flat_store_dwordx4 v[4:5], v[0:3]
	flat_load_dword v3, v[40:41] offset:504
	s_nop 0
	flat_load_dwordx2 v[4:5], v[40:41] offset:488
	flat_load_dwordx2 v[6:7], v[40:41] offset:472
	flat_load_dwordx3 v[0:2], v[40:41] offset:456
	v_cmp_eq_u32_e32 vcc, 0, v45
	s_or_b64 s[14:15], vcc, s[14:15]
	s_waitcnt vmcnt(0) lgkmcnt(0)
	v_add_u32_e32 v63, -7, v3
	v_sub_u32_e32 v3, v63, v5
	v_add_u32_e32 v6, v6, v3
	v_ashrrev_i32_e32 v3, 31, v6
	v_lshrrev_b32_e32 v3, 28, v3
	v_add_u32_e32 v3, v6, v3
	v_and_b32_e32 v3, -16, v3
	v_sub_u32_e32 v7, v7, v4
	v_sub_u32_e32 v3, v6, v3
	v_xor_b32_e32 v3, v7, v3
	v_sub_u32_e32 v2, v6, v2
	v_sub_u32_e32 v1, v3, v1
	v_lshlrev_b32_e32 v2, 8, v2
	v_lshlrev_b32_e32 v1, 4, v1
	v_mov_b32_e32 v4, v6
	v_add3_u32 v2, v2, v1, v0
	flat_store_dword v[40:41], v63 offset:504
	flat_store_dwordx2 v[40:41], v[62:63] offset:488
	flat_store_dwordx2 v[40:41], v[6:7] offset:472
	flat_store_dwordx3 v[40:41], v[2:4] offset:456
	s_andn2_b64 exec, exec, s[14:15]
	s_cbranch_execz .LBB4_2170
.LBB4_62:                               ; =>This Loop Header: Depth=1
                                        ;     Child Loop BB4_63 Depth 2
                                        ;     Child Loop BB4_65 Depth 2
	;; [unrolled: 1-line block ×24, first 2 shown]
	flat_store_byte v[46:47], v125 offset:272
	flat_load_dwordx2 v[8:9], v[46:47] offset:688
	flat_load_dwordx4 v[0:3], v[56:57]
	s_waitcnt vmcnt(0) lgkmcnt(0)
	v_mov_b32_e32 v3, s22
	s_mov_b64 s[6:7], exec
	v_lshlrev_b32_e32 v10, 1, v8
	v_lshlrev_b32_e32 v2, 1, v2
.LBB4_63:                               ;   Parent Loop BB4_62 Depth=1
                                        ; =>  This Inner Loop Header: Depth=2
	v_readfirstlane_b32 s8, v0
	v_readfirstlane_b32 s9, v1
	;; [unrolled: 1-line block ×4, first 2 shown]
	v_cmp_eq_u64_e32 vcc, s[8:9], v[0:1]
	v_cmp_eq_u64_e64 s[4:5], s[10:11], v[2:3]
	s_and_b64 s[4:5], vcc, s[4:5]
	s_and_saveexec_b64 s[4:5], s[4:5]
	s_nop 0
	buffer_load_dwordx4 v[4:7], v10, s[8:11], 0 offen
                                        ; implicit-def: $vgpr0_vgpr1_vgpr2_vgpr3
                                        ; implicit-def: $vgpr10
	s_xor_b64 exec, exec, s[4:5]
	s_cbranch_execnz .LBB4_63
; %bb.64:                               ;   in Loop: Header=BB4_62 Depth=1
	s_mov_b64 exec, s[6:7]
	flat_load_dword v10, v[46:47] offset:708
	v_add_u32_e32 v0, 1, v9
	flat_store_dword v[46:47], v0 offset:692
	s_waitcnt vmcnt(0)
	flat_store_dwordx4 v[46:47], v[4:7]
	flat_store_byte v[46:47], v125 offset:280
	s_mov_b64 s[6:7], exec
	s_waitcnt lgkmcnt(0)
	v_add_u32_e32 v0, 1, v10
	flat_store_dword v[46:47], v0 offset:708
	flat_load_dword v0, v[58:59] offset:8
	s_waitcnt vmcnt(0) lgkmcnt(0)
	v_add_u32_e32 v8, v0, v8
	flat_store_dword v[46:47], v8 offset:688
	flat_load_dwordx4 v[0:3], v[56:57]
	v_lshlrev_b32_e32 v11, 1, v8
	s_waitcnt vmcnt(0) lgkmcnt(0)
	v_mov_b32_e32 v3, s22
	v_lshlrev_b32_e32 v2, 1, v2
.LBB4_65:                               ;   Parent Loop BB4_62 Depth=1
                                        ; =>  This Inner Loop Header: Depth=2
	v_readfirstlane_b32 s8, v0
	v_readfirstlane_b32 s9, v1
	v_readfirstlane_b32 s10, v2
	v_readfirstlane_b32 s11, v3
	v_cmp_eq_u64_e32 vcc, s[8:9], v[0:1]
	v_cmp_eq_u64_e64 s[4:5], s[10:11], v[2:3]
	s_and_b64 s[4:5], vcc, s[4:5]
	s_and_saveexec_b64 s[4:5], s[4:5]
	s_nop 0
	buffer_load_dwordx4 v[4:7], v11, s[8:11], 0 offen
                                        ; implicit-def: $vgpr0_vgpr1_vgpr2_vgpr3
                                        ; implicit-def: $vgpr11
	s_xor_b64 exec, exec, s[4:5]
	s_cbranch_execnz .LBB4_65
; %bb.66:                               ;   in Loop: Header=BB4_62 Depth=1
	s_mov_b64 exec, s[6:7]
	v_add_u32_e32 v0, 2, v10
	flat_store_dword v[46:47], v0 offset:708
	v_add_u32_e32 v0, 2, v9
	s_waitcnt vmcnt(0)
	flat_store_dwordx4 v[46:47], v[4:7] offset:16
	flat_store_dword v[46:47], v0 offset:692
	flat_load_dword v0, v[58:59] offset:8
	s_mov_b64 s[6:7], exec
	flat_store_byte v[46:47], v125 offset:288
	s_waitcnt vmcnt(0) lgkmcnt(0)
	v_add_u32_e32 v8, v0, v8
	flat_store_dword v[46:47], v8 offset:688
	flat_load_dwordx4 v[0:3], v[56:57]
	v_lshlrev_b32_e32 v11, 1, v8
	s_waitcnt vmcnt(0) lgkmcnt(0)
	v_mov_b32_e32 v3, s22
	v_lshlrev_b32_e32 v2, 1, v2
.LBB4_67:                               ;   Parent Loop BB4_62 Depth=1
                                        ; =>  This Inner Loop Header: Depth=2
	v_readfirstlane_b32 s8, v0
	v_readfirstlane_b32 s9, v1
	v_readfirstlane_b32 s10, v2
	v_readfirstlane_b32 s11, v3
	v_cmp_eq_u64_e32 vcc, s[8:9], v[0:1]
	v_cmp_eq_u64_e64 s[4:5], s[10:11], v[2:3]
	s_and_b64 s[4:5], vcc, s[4:5]
	s_and_saveexec_b64 s[4:5], s[4:5]
	s_nop 0
	buffer_load_dwordx4 v[4:7], v11, s[8:11], 0 offen
                                        ; implicit-def: $vgpr0_vgpr1_vgpr2_vgpr3
                                        ; implicit-def: $vgpr11
	s_xor_b64 exec, exec, s[4:5]
	s_cbranch_execnz .LBB4_67
; %bb.68:                               ;   in Loop: Header=BB4_62 Depth=1
	s_mov_b64 exec, s[6:7]
	v_add_u32_e32 v0, 3, v10
	flat_store_dword v[46:47], v0 offset:708
	v_add_u32_e32 v0, 3, v9
	s_waitcnt vmcnt(0)
	flat_store_dwordx4 v[46:47], v[4:7] offset:32
	flat_store_dword v[46:47], v0 offset:692
	flat_load_dword v0, v[58:59] offset:8
	s_mov_b64 s[6:7], exec
	flat_store_byte v[46:47], v125 offset:296
	;; [unrolled: 35-line block ×13, first 2 shown]
	s_waitcnt vmcnt(0) lgkmcnt(0)
	v_add_u32_e32 v8, v0, v8
	flat_store_dword v[46:47], v8 offset:688
	flat_load_dwordx4 v[0:3], v[56:57]
	v_lshlrev_b32_e32 v11, 1, v8
	s_waitcnt vmcnt(0) lgkmcnt(0)
	v_mov_b32_e32 v3, s22
	v_lshlrev_b32_e32 v2, 1, v2
.LBB4_91:                               ;   Parent Loop BB4_62 Depth=1
                                        ; =>  This Inner Loop Header: Depth=2
	v_readfirstlane_b32 s8, v0
	v_readfirstlane_b32 s9, v1
	;; [unrolled: 1-line block ×4, first 2 shown]
	v_cmp_eq_u64_e32 vcc, s[8:9], v[0:1]
	v_cmp_eq_u64_e64 s[4:5], s[10:11], v[2:3]
	s_and_b64 s[4:5], vcc, s[4:5]
	s_and_saveexec_b64 s[4:5], s[4:5]
	s_nop 0
	buffer_load_dwordx4 v[4:7], v11, s[8:11], 0 offen
                                        ; implicit-def: $vgpr0_vgpr1_vgpr2_vgpr3
                                        ; implicit-def: $vgpr11
	s_xor_b64 exec, exec, s[4:5]
	s_cbranch_execnz .LBB4_91
; %bb.92:                               ;   in Loop: Header=BB4_62 Depth=1
	s_mov_b64 exec, s[6:7]
	v_add_u32_e32 v0, 15, v10
	flat_store_dword v[46:47], v0 offset:708
	v_add_u32_e32 v0, 15, v9
	s_waitcnt vmcnt(0)
	flat_store_dwordx4 v[46:47], v[4:7] offset:224
	flat_store_dword v[46:47], v0 offset:692
	flat_load_dword v0, v[58:59] offset:8
	s_mov_b64 s[6:7], exec
	s_waitcnt vmcnt(0) lgkmcnt(0)
	v_add_u32_e32 v4, v0, v8
	flat_store_dword v[46:47], v4 offset:688
	flat_load_dwordx4 v[0:3], v[56:57]
	v_lshlrev_b32_e32 v8, 1, v4
	s_waitcnt vmcnt(0) lgkmcnt(0)
	v_mov_b32_e32 v3, s22
	flat_store_byte v[46:47], v125 offset:392
	v_lshlrev_b32_e32 v2, 1, v2
.LBB4_93:                               ;   Parent Loop BB4_62 Depth=1
                                        ; =>  This Inner Loop Header: Depth=2
	v_readfirstlane_b32 s8, v0
	v_readfirstlane_b32 s9, v1
	;; [unrolled: 1-line block ×4, first 2 shown]
	v_cmp_eq_u64_e32 vcc, s[8:9], v[0:1]
	v_cmp_eq_u64_e64 s[4:5], s[10:11], v[2:3]
	s_and_b64 s[4:5], vcc, s[4:5]
	s_and_saveexec_b64 s[4:5], s[4:5]
	s_nop 0
	buffer_load_dwordx4 v[4:7], v8, s[8:11], 0 offen
                                        ; implicit-def: $vgpr0_vgpr1_vgpr2_vgpr3
                                        ; implicit-def: $vgpr8
	s_xor_b64 exec, exec, s[4:5]
	s_cbranch_execnz .LBB4_93
; %bb.94:                               ;   in Loop: Header=BB4_62 Depth=1
	s_mov_b64 exec, s[6:7]
	s_waitcnt vmcnt(0)
	flat_store_dwordx4 v[46:47], v[4:7] offset:240
	flat_store_byte v[40:41], v125 offset:144
	flat_load_dwordx2 v[8:9], v[40:41] offset:432
	flat_load_dwordx4 v[0:3], v[118:119]
	s_waitcnt vmcnt(0) lgkmcnt(0)
	v_mov_b32_e32 v3, s22
	s_mov_b64 s[6:7], exec
.LBB4_95:                               ;   Parent Loop BB4_62 Depth=1
                                        ; =>  This Inner Loop Header: Depth=2
	v_readfirstlane_b32 s8, v0
	v_readfirstlane_b32 s9, v1
	;; [unrolled: 1-line block ×4, first 2 shown]
	v_cmp_eq_u64_e32 vcc, s[8:9], v[0:1]
	v_cmp_eq_u64_e64 s[4:5], s[10:11], v[2:3]
	s_and_b64 s[4:5], vcc, s[4:5]
	s_and_saveexec_b64 s[4:5], s[4:5]
	s_nop 0
	buffer_load_dwordx4 v[4:7], v8, s[8:11], 0 offen
                                        ; implicit-def: $vgpr0_vgpr1_vgpr2_vgpr3
	s_xor_b64 exec, exec, s[4:5]
	s_cbranch_execnz .LBB4_95
; %bb.96:                               ;   in Loop: Header=BB4_62 Depth=1
	s_mov_b64 exec, s[6:7]
	flat_load_dword v10, v[40:41] offset:452
	v_add_u32_e32 v0, 1, v9
	flat_store_dword v[40:41], v0 offset:436
	s_waitcnt vmcnt(0)
	flat_store_dwordx4 v[40:41], v[4:7]
	s_mov_b64 s[6:7], exec
	s_waitcnt lgkmcnt(0)
	v_add_u32_e32 v0, 1, v10
	flat_store_dword v[40:41], v0 offset:452
	flat_load_dword v0, v[42:43] offset:8
	s_waitcnt vmcnt(0) lgkmcnt(0)
	v_add_u32_e32 v8, v0, v8
	flat_store_dword v[40:41], v8 offset:432
	flat_store_byte v[40:41], v125 offset:160
	flat_load_dwordx4 v[0:3], v[118:119]
	s_waitcnt vmcnt(0) lgkmcnt(0)
	v_mov_b32_e32 v3, s22
.LBB4_97:                               ;   Parent Loop BB4_62 Depth=1
                                        ; =>  This Inner Loop Header: Depth=2
	v_readfirstlane_b32 s8, v0
	v_readfirstlane_b32 s9, v1
	;; [unrolled: 1-line block ×4, first 2 shown]
	v_cmp_eq_u64_e32 vcc, s[8:9], v[0:1]
	v_cmp_eq_u64_e64 s[4:5], s[10:11], v[2:3]
	s_and_b64 s[4:5], vcc, s[4:5]
	s_and_saveexec_b64 s[4:5], s[4:5]
	s_nop 0
	buffer_load_dwordx4 v[4:7], v8, s[8:11], 0 offen
                                        ; implicit-def: $vgpr0_vgpr1_vgpr2_vgpr3
	s_xor_b64 exec, exec, s[4:5]
	s_cbranch_execnz .LBB4_97
; %bb.98:                               ;   in Loop: Header=BB4_62 Depth=1
	s_mov_b64 exec, s[6:7]
	v_add_u32_e32 v0, 2, v10
	flat_store_dword v[40:41], v0 offset:452
	v_add_u32_e32 v0, 2, v9
	s_waitcnt vmcnt(0)
	flat_store_dwordx4 v[40:41], v[4:7] offset:16
	flat_store_dword v[40:41], v0 offset:436
	flat_load_dword v0, v[42:43] offset:8
	s_mov_b64 s[6:7], exec
	s_waitcnt vmcnt(0) lgkmcnt(0)
	v_add_u32_e32 v8, v0, v8
	flat_store_dword v[40:41], v8 offset:432
	flat_store_byte v[40:41], v125 offset:176
	flat_load_dwordx4 v[0:3], v[118:119]
	s_waitcnt vmcnt(0) lgkmcnt(0)
	v_mov_b32_e32 v3, s22
.LBB4_99:                               ;   Parent Loop BB4_62 Depth=1
                                        ; =>  This Inner Loop Header: Depth=2
	v_readfirstlane_b32 s8, v0
	v_readfirstlane_b32 s9, v1
	;; [unrolled: 1-line block ×4, first 2 shown]
	v_cmp_eq_u64_e32 vcc, s[8:9], v[0:1]
	v_cmp_eq_u64_e64 s[4:5], s[10:11], v[2:3]
	s_and_b64 s[4:5], vcc, s[4:5]
	s_and_saveexec_b64 s[4:5], s[4:5]
	s_nop 0
	buffer_load_dwordx4 v[4:7], v8, s[8:11], 0 offen
                                        ; implicit-def: $vgpr0_vgpr1_vgpr2_vgpr3
	s_xor_b64 exec, exec, s[4:5]
	s_cbranch_execnz .LBB4_99
; %bb.100:                              ;   in Loop: Header=BB4_62 Depth=1
	s_mov_b64 exec, s[6:7]
	v_add_u32_e32 v0, 3, v10
	flat_store_dword v[40:41], v0 offset:452
	v_add_u32_e32 v0, 3, v9
	s_waitcnt vmcnt(0)
	flat_store_dwordx4 v[40:41], v[4:7] offset:32
	flat_store_dword v[40:41], v0 offset:436
	flat_load_dword v0, v[42:43] offset:8
	s_mov_b64 s[6:7], exec
	s_waitcnt vmcnt(0) lgkmcnt(0)
	v_add_u32_e32 v8, v0, v8
	flat_store_dword v[40:41], v8 offset:432
	flat_store_byte v[40:41], v125 offset:192
	flat_load_dwordx4 v[0:3], v[118:119]
	s_waitcnt vmcnt(0) lgkmcnt(0)
	v_mov_b32_e32 v3, s22
.LBB4_101:                              ;   Parent Loop BB4_62 Depth=1
                                        ; =>  This Inner Loop Header: Depth=2
	v_readfirstlane_b32 s8, v0
	v_readfirstlane_b32 s9, v1
	v_readfirstlane_b32 s10, v2
	v_readfirstlane_b32 s11, v3
	v_cmp_eq_u64_e32 vcc, s[8:9], v[0:1]
	v_cmp_eq_u64_e64 s[4:5], s[10:11], v[2:3]
	s_and_b64 s[4:5], vcc, s[4:5]
	s_and_saveexec_b64 s[4:5], s[4:5]
	s_nop 0
	buffer_load_dwordx4 v[4:7], v8, s[8:11], 0 offen
                                        ; implicit-def: $vgpr0_vgpr1_vgpr2_vgpr3
	s_xor_b64 exec, exec, s[4:5]
	s_cbranch_execnz .LBB4_101
; %bb.102:                              ;   in Loop: Header=BB4_62 Depth=1
	s_mov_b64 exec, s[6:7]
	v_add_u32_e32 v0, 4, v10
	flat_store_dword v[40:41], v0 offset:452
	v_add_u32_e32 v0, 4, v9
	s_waitcnt vmcnt(0)
	flat_store_dwordx4 v[40:41], v[4:7] offset:48
	flat_store_dword v[40:41], v0 offset:436
	flat_load_dword v0, v[42:43] offset:8
	s_mov_b64 s[6:7], exec
	s_waitcnt vmcnt(0) lgkmcnt(0)
	v_add_u32_e32 v8, v0, v8
	flat_store_dword v[40:41], v8 offset:432
	flat_store_byte v[40:41], v125 offset:208
	flat_load_dwordx4 v[0:3], v[118:119]
	s_waitcnt vmcnt(0) lgkmcnt(0)
	v_mov_b32_e32 v3, s22
.LBB4_103:                              ;   Parent Loop BB4_62 Depth=1
                                        ; =>  This Inner Loop Header: Depth=2
	v_readfirstlane_b32 s8, v0
	v_readfirstlane_b32 s9, v1
	v_readfirstlane_b32 s10, v2
	v_readfirstlane_b32 s11, v3
	v_cmp_eq_u64_e32 vcc, s[8:9], v[0:1]
	v_cmp_eq_u64_e64 s[4:5], s[10:11], v[2:3]
	s_and_b64 s[4:5], vcc, s[4:5]
	s_and_saveexec_b64 s[4:5], s[4:5]
	s_nop 0
	buffer_load_dwordx4 v[4:7], v8, s[8:11], 0 offen
                                        ; implicit-def: $vgpr0_vgpr1_vgpr2_vgpr3
	s_xor_b64 exec, exec, s[4:5]
	s_cbranch_execnz .LBB4_103
; %bb.104:                              ;   in Loop: Header=BB4_62 Depth=1
	s_mov_b64 exec, s[6:7]
	v_add_u32_e32 v0, 5, v10
	flat_store_dword v[40:41], v0 offset:452
	v_add_u32_e32 v0, 5, v9
	s_waitcnt vmcnt(0)
	flat_store_dwordx4 v[40:41], v[4:7] offset:64
	flat_store_dword v[40:41], v0 offset:436
	flat_load_dword v0, v[42:43] offset:8
	s_mov_b64 s[6:7], exec
	s_waitcnt vmcnt(0) lgkmcnt(0)
	v_add_u32_e32 v8, v0, v8
	flat_store_dword v[40:41], v8 offset:432
	flat_store_byte v[40:41], v125 offset:224
	flat_load_dwordx4 v[0:3], v[118:119]
	s_waitcnt vmcnt(0) lgkmcnt(0)
	v_mov_b32_e32 v3, s22
.LBB4_105:                              ;   Parent Loop BB4_62 Depth=1
                                        ; =>  This Inner Loop Header: Depth=2
	v_readfirstlane_b32 s8, v0
	v_readfirstlane_b32 s9, v1
	v_readfirstlane_b32 s10, v2
	v_readfirstlane_b32 s11, v3
	v_cmp_eq_u64_e32 vcc, s[8:9], v[0:1]
	v_cmp_eq_u64_e64 s[4:5], s[10:11], v[2:3]
	s_and_b64 s[4:5], vcc, s[4:5]
	s_and_saveexec_b64 s[4:5], s[4:5]
	s_nop 0
	buffer_load_dwordx4 v[4:7], v8, s[8:11], 0 offen
                                        ; implicit-def: $vgpr0_vgpr1_vgpr2_vgpr3
	s_xor_b64 exec, exec, s[4:5]
	s_cbranch_execnz .LBB4_105
; %bb.106:                              ;   in Loop: Header=BB4_62 Depth=1
	s_mov_b64 exec, s[6:7]
	v_add_u32_e32 v0, 6, v10
	flat_store_dword v[40:41], v0 offset:452
	v_add_u32_e32 v0, 6, v9
	s_waitcnt vmcnt(0)
	flat_store_dwordx4 v[40:41], v[4:7] offset:80
	flat_store_dword v[40:41], v0 offset:436
	flat_load_dword v0, v[42:43] offset:8
	s_mov_b64 s[6:7], exec
	s_waitcnt vmcnt(0) lgkmcnt(0)
	v_add_u32_e32 v8, v0, v8
	flat_store_dword v[40:41], v8 offset:432
	flat_store_byte v[40:41], v125 offset:240
	flat_load_dwordx4 v[0:3], v[118:119]
	s_waitcnt vmcnt(0) lgkmcnt(0)
	v_mov_b32_e32 v3, s22
.LBB4_107:                              ;   Parent Loop BB4_62 Depth=1
                                        ; =>  This Inner Loop Header: Depth=2
	v_readfirstlane_b32 s8, v0
	v_readfirstlane_b32 s9, v1
	v_readfirstlane_b32 s10, v2
	v_readfirstlane_b32 s11, v3
	v_cmp_eq_u64_e32 vcc, s[8:9], v[0:1]
	v_cmp_eq_u64_e64 s[4:5], s[10:11], v[2:3]
	s_and_b64 s[4:5], vcc, s[4:5]
	s_and_saveexec_b64 s[4:5], s[4:5]
	s_nop 0
	buffer_load_dwordx4 v[4:7], v8, s[8:11], 0 offen
                                        ; implicit-def: $vgpr0_vgpr1_vgpr2_vgpr3
	s_xor_b64 exec, exec, s[4:5]
	s_cbranch_execnz .LBB4_107
; %bb.108:                              ;   in Loop: Header=BB4_62 Depth=1
	s_mov_b64 exec, s[6:7]
	v_add_u32_e32 v0, 7, v10
	flat_store_dword v[40:41], v0 offset:452
	v_add_u32_e32 v0, 7, v9
	s_waitcnt vmcnt(0)
	flat_store_dwordx4 v[40:41], v[4:7] offset:96
	flat_store_dword v[40:41], v0 offset:436
	flat_load_dword v0, v[42:43] offset:8
	s_mov_b64 s[6:7], exec
	s_waitcnt vmcnt(0) lgkmcnt(0)
	v_add_u32_e32 v8, v0, v8
	flat_store_dword v[40:41], v8 offset:432
	flat_load_dwordx4 v[0:3], v[118:119]
	s_waitcnt vmcnt(0) lgkmcnt(0)
	v_mov_b32_e32 v3, s22
	flat_store_byte v[40:41], v125 offset:256
.LBB4_109:                              ;   Parent Loop BB4_62 Depth=1
                                        ; =>  This Inner Loop Header: Depth=2
	v_readfirstlane_b32 s8, v0
	v_readfirstlane_b32 s9, v1
	;; [unrolled: 1-line block ×4, first 2 shown]
	v_cmp_eq_u64_e32 vcc, s[8:9], v[0:1]
	v_cmp_eq_u64_e64 s[4:5], s[10:11], v[2:3]
	s_and_b64 s[4:5], vcc, s[4:5]
	s_and_saveexec_b64 s[4:5], s[4:5]
	s_nop 0
	buffer_load_dwordx4 v[4:7], v8, s[8:11], 0 offen
                                        ; implicit-def: $vgpr0_vgpr1_vgpr2_vgpr3
                                        ; implicit-def: $vgpr8
	s_xor_b64 exec, exec, s[4:5]
	s_cbranch_execnz .LBB4_109
; %bb.110:                              ;   in Loop: Header=BB4_62 Depth=1
	s_mov_b64 exec, s[6:7]
	v_accvgpr_read_b32 v0, a32
	s_waitcnt vmcnt(0)
	flat_store_dwordx4 v[40:41], v[4:7] offset:112
	v_accvgpr_read_b32 v1, a33
	flat_load_dwordx3 v[0:2], v[0:1]
	s_nop 0
	flat_load_dwordx3 v[4:6], v[46:47] offset:700
	s_waitcnt vmcnt(0) lgkmcnt(0)
	v_add_u32_e32 v1, -15, v1
	v_add_u32_e32 v5, v5, v2
	v_cmp_ne_u32_e32 vcc, 0, v1
	v_add_u32_e32 v6, v6, v1
	v_add_u32_e32 v4, v4, v0
	flat_store_dwordx3 v[46:47], v[4:6] offset:700
	s_and_saveexec_b64 s[4:5], vcc
	s_cbranch_execz .LBB4_112
; %bb.111:                              ;   in Loop: Header=BB4_62 Depth=1
	flat_load_dword v3, v[46:47] offset:692
	s_waitcnt vmcnt(0) lgkmcnt(0)
	v_add_u32_e32 v3, v3, v1
	flat_store_dword v[46:47], v3 offset:692
.LBB4_112:                              ;   in Loop: Header=BB4_62 Depth=1
	s_or_b64 exec, exec, s[4:5]
	v_or_b32_e32 v3, v2, v0
	v_cmp_ne_u32_e32 vcc, 0, v3
	v_mov_b32_e32 v4, 0
	s_and_saveexec_b64 s[4:5], vcc
	s_cbranch_execz .LBB4_114
; %bb.113:                              ;   in Loop: Header=BB4_62 Depth=1
	flat_load_dword v4, v[58:59] offset:24
	flat_load_dword v6, v[46:47] offset:696
	s_waitcnt vmcnt(0) lgkmcnt(0)
	v_mad_u64_u32 v[4:5], s[6:7], v4, v0, v[2:3]
	v_add_u32_e32 v0, v4, v6
	flat_store_dword v[46:47], v0 offset:696
.LBB4_114:                              ;   in Loop: Header=BB4_62 Depth=1
	s_or_b64 exec, exec, s[4:5]
	v_or_b32_e32 v0, v3, v1
	v_cmp_ne_u32_e32 vcc, 0, v0
	s_and_saveexec_b64 s[4:5], vcc
	s_cbranch_execz .LBB4_116
; %bb.115:                              ;   in Loop: Header=BB4_62 Depth=1
	flat_load_dword v0, v[58:59] offset:8
	flat_load_dword v2, v[46:47] offset:688
	s_waitcnt vmcnt(0) lgkmcnt(0)
	v_mul_lo_u32 v0, v0, v1
	v_add3_u32 v0, v2, v4, v0
	flat_store_dword v[46:47], v0 offset:688
.LBB4_116:                              ;   in Loop: Header=BB4_62 Depth=1
	s_or_b64 exec, exec, s[4:5]
	v_accvgpr_read_b32 v0, a30
	v_accvgpr_read_b32 v1, a31
	flat_load_dwordx3 v[0:2], v[0:1]
	s_nop 0
	flat_load_dwordx3 v[4:6], v[40:41] offset:444
	s_waitcnt vmcnt(0) lgkmcnt(0)
	v_add_u32_e32 v1, -7, v1
	v_add_u32_e32 v5, v5, v2
	v_cmp_ne_u32_e32 vcc, 0, v1
	v_add_u32_e32 v6, v6, v1
	v_add_u32_e32 v4, v4, v0
	flat_store_dwordx3 v[40:41], v[4:6] offset:444
	s_and_saveexec_b64 s[4:5], vcc
	s_cbranch_execz .LBB4_118
; %bb.117:                              ;   in Loop: Header=BB4_62 Depth=1
	flat_load_dword v3, v[40:41] offset:436
	s_waitcnt vmcnt(0) lgkmcnt(0)
	v_add_u32_e32 v3, v3, v1
	flat_store_dword v[40:41], v3 offset:436
.LBB4_118:                              ;   in Loop: Header=BB4_62 Depth=1
	s_or_b64 exec, exec, s[4:5]
	v_or_b32_e32 v3, v2, v0
	v_cmp_ne_u32_e32 vcc, 0, v3
	v_mov_b32_e32 v4, 0
	s_and_saveexec_b64 s[4:5], vcc
	s_cbranch_execz .LBB4_120
; %bb.119:                              ;   in Loop: Header=BB4_62 Depth=1
	flat_load_dword v4, v[42:43] offset:24
	flat_load_dword v6, v[40:41] offset:440
	s_waitcnt vmcnt(0) lgkmcnt(0)
	v_mad_u64_u32 v[4:5], s[6:7], v4, v0, v[2:3]
	v_add_u32_e32 v0, v4, v6
	flat_store_dword v[40:41], v0 offset:440
.LBB4_120:                              ;   in Loop: Header=BB4_62 Depth=1
	s_or_b64 exec, exec, s[4:5]
	v_or_b32_e32 v0, v3, v1
	v_cmp_ne_u32_e32 vcc, 0, v0
	s_and_saveexec_b64 s[4:5], vcc
	s_cbranch_execz .LBB4_122
; %bb.121:                              ;   in Loop: Header=BB4_62 Depth=1
	flat_load_dword v0, v[42:43] offset:8
	flat_load_dword v2, v[40:41] offset:432
	s_waitcnt vmcnt(0) lgkmcnt(0)
	v_mul_lo_u32 v0, v0, v1
	v_add3_u32 v0, v2, v4, v0
	flat_store_dword v[40:41], v0 offset:432
.LBB4_122:                              ;   in Loop: Header=BB4_62 Depth=1
	s_or_b64 exec, exec, s[4:5]
	s_waitcnt lgkmcnt(0)
	; wave barrier
	flat_load_dwordx3 v[0:2], v[102:103] offset:208
	flat_load_dwordx2 v[6:7], v[102:103] offset:260
	flat_load_dwordx2 v[8:9], v[102:103] offset:224
	flat_load_dword v3, v[102:103] offset:252
	flat_load_dwordx2 v[4:5], v[78:79]
	flat_load_dword v54, v[102:103] offset:280
	flat_load_dwordx2 v[36:37], v[112:113]
	s_mov_b64 s[4:5], 0
                                        ; implicit-def: $sgpr10
	s_waitcnt vmcnt(0) lgkmcnt(0)
	v_ashrrev_i32_e32 v11, 31, v0
	v_mov_b32_e32 v10, v0
	v_add_u32_e32 v12, 8, v7
	v_sub_u32_e32 v32, v9, v3
	v_ashrrev_i32_e32 v9, 31, v8
	v_sub_u32_e32 v13, v8, v2
	v_add_u32_e32 v14, 16, v7
	v_add_u32_e32 v15, 24, v7
	v_lshlrev_b64 v[2:3], 1, v[10:11]
	v_ashrrev_i32_e32 v10, 31, v12
	v_add_u32_e32 v16, 32, v7
	v_lshrrev_b32_e32 v9, 27, v9
	v_lshl_add_u32 v0, v13, 8, v0
	v_ashrrev_i32_e32 v11, 31, v14
	v_ashrrev_i32_e32 v13, 31, v15
	v_lshrrev_b32_e32 v10, 29, v10
	v_ashrrev_i32_e32 v17, 31, v16
	v_add_u32_e32 v9, v8, v9
	v_sub_u32_e32 v0, v0, v6
	v_lshrrev_b32_e32 v6, 29, v11
	v_lshrrev_b32_e32 v11, 29, v13
	v_add_u32_e32 v10, v12, v10
	v_lshrrev_b32_e32 v13, 29, v17
	v_and_b32_e32 v9, 0xffffffe0, v9
	v_add_u32_e32 v6, v14, v6
	v_add_u32_e32 v11, v15, v11
	v_lshrrev_b32_e32 v17, 3, v10
	v_and_b32_e32 v10, -8, v10
	v_sub_u32_e32 v33, v8, v9
	v_lshrrev_b32_e32 v8, 3, v6
	v_lshrrev_b32_e32 v9, 3, v11
	v_sub_u32_e32 v10, v12, v10
	v_add_u32_e32 v12, v17, v32
	v_add_u32_e32 v8, v8, v32
	;; [unrolled: 1-line block ×3, first 2 shown]
	v_xor_b32_e32 v12, v12, v33
	v_xor_b32_e32 v8, v8, v33
	;; [unrolled: 1-line block ×3, first 2 shown]
	v_sub_u32_e32 v12, v12, v1
	v_add_u32_e32 v13, v16, v13
	v_and_b32_e32 v11, -8, v11
	v_sub_u32_e32 v8, v8, v1
	v_sub_u32_e32 v9, v9, v1
	v_lshlrev_b32_e32 v12, 3, v12
	v_and_b32_e32 v6, -8, v6
	v_lshrrev_b32_e32 v18, 3, v13
	v_sub_u32_e32 v11, v15, v11
	v_lshlrev_b32_e32 v15, 3, v8
	v_lshlrev_b32_e32 v9, 3, v9
	v_add3_u32 v8, v10, v0, v12
	v_add_co_u32_e32 v2, vcc, v4, v2
	v_sub_u32_e32 v6, v14, v6
	v_add_u32_e32 v14, v18, v32
	v_add3_u32 v12, v11, v0, v9
	v_ashrrev_i32_e32 v9, 31, v8
	v_addc_co_u32_e32 v3, vcc, v5, v3, vcc
	v_xor_b32_e32 v14, v14, v33
	v_add3_u32 v10, v6, v0, v15
	v_lshlrev_b64 v[8:9], 1, v[8:9]
	v_and_b32_e32 v13, -8, v13
	v_sub_u32_e32 v14, v14, v1
	v_ashrrev_i32_e32 v11, 31, v10
	v_add_co_u32_e32 v8, vcc, v4, v8
	v_sub_u32_e32 v13, v16, v13
	v_lshlrev_b32_e32 v14, 3, v14
	v_lshlrev_b64 v[10:11], 1, v[10:11]
	v_addc_co_u32_e32 v9, vcc, v5, v9, vcc
	v_add3_u32 v14, v13, v0, v14
	v_ashrrev_i32_e32 v13, 31, v12
	v_add_co_u32_e32 v10, vcc, v4, v10
	v_lshlrev_b64 v[12:13], 1, v[12:13]
	v_addc_co_u32_e32 v11, vcc, v5, v11, vcc
	v_add_co_u32_e32 v12, vcc, v4, v12
	v_add_u32_e32 v6, 40, v7
	v_addc_co_u32_e32 v13, vcc, v5, v13, vcc
	flat_load_dwordx4 v[28:31], v[2:3]
	flat_load_dwordx4 v[24:27], v[8:9]
                                        ; kill: killed $vgpr2 killed $vgpr3
                                        ; kill: killed $vgpr8 killed $vgpr9
	flat_load_dwordx4 v[20:23], v[10:11]
	flat_load_dwordx4 v[16:19], v[12:13]
	v_ashrrev_i32_e32 v8, 31, v6
	v_lshrrev_b32_e32 v8, 29, v8
	v_add_u32_e32 v8, v6, v8
	v_lshrrev_b32_e32 v9, 3, v8
	v_and_b32_e32 v8, -8, v8
	v_sub_u32_e32 v6, v6, v8
	v_add_u32_e32 v8, v9, v32
	v_xor_b32_e32 v8, v8, v33
	v_sub_u32_e32 v8, v8, v1
	v_ashrrev_i32_e32 v15, 31, v14
	v_lshlrev_b32_e32 v8, 3, v8
	v_lshlrev_b64 v[2:3], 1, v[14:15]
	v_add3_u32 v8, v6, v0, v8
	v_add_co_u32_e32 v2, vcc, v4, v2
	v_ashrrev_i32_e32 v9, 31, v8
	v_addc_co_u32_e32 v3, vcc, v5, v3, vcc
	v_lshlrev_b64 v[8:9], 1, v[8:9]
	v_add_co_u32_e32 v8, vcc, v4, v8
	v_addc_co_u32_e32 v9, vcc, v5, v9, vcc
	flat_load_dwordx4 v[12:15], v[2:3]
	flat_load_dwordx4 a[8:11], v[8:9]
	v_add_u32_e32 v2, 48, v7
	v_ashrrev_i32_e32 v3, 31, v2
	v_lshrrev_b32_e32 v3, 29, v3
	v_add_u32_e32 v3, v2, v3
	v_lshrrev_b32_e32 v6, 3, v3
	v_and_b32_e32 v3, -8, v3
	v_sub_u32_e32 v2, v2, v3
	v_add_u32_e32 v3, v6, v32
	v_add_u32_e32 v6, 56, v7
	v_ashrrev_i32_e32 v7, 31, v6
	v_lshrrev_b32_e32 v7, 29, v7
	v_add_u32_e32 v7, v6, v7
	v_xor_b32_e32 v3, v3, v33
	v_lshrrev_b32_e32 v8, 3, v7
	v_and_b32_e32 v7, -8, v7
	v_sub_u32_e32 v3, v3, v1
	v_sub_u32_e32 v6, v6, v7
	v_add_u32_e32 v7, v8, v32
	v_lshlrev_b32_e32 v3, 3, v3
	v_xor_b32_e32 v7, v7, v33
	v_add3_u32 v2, v2, v0, v3
	v_sub_u32_e32 v1, v7, v1
	v_ashrrev_i32_e32 v3, 31, v2
	v_lshlrev_b32_e32 v1, 3, v1
	v_lshlrev_b64 v[2:3], 1, v[2:3]
	v_add3_u32 v0, v6, v0, v1
	v_add_co_u32_e32 v2, vcc, v4, v2
	v_ashrrev_i32_e32 v1, 31, v0
	v_addc_co_u32_e32 v3, vcc, v5, v3, vcc
	v_lshlrev_b64 v[0:1], 1, v[0:1]
	v_add_co_u32_e32 v0, vcc, v4, v0
	v_addc_co_u32_e32 v1, vcc, v5, v1, vcc
	v_ashrrev_i32_e32 v5, 31, v54
	v_add_co_u32_e32 v4, vcc, v36, v54
	v_addc_co_u32_e32 v5, vcc, v37, v5, vcc
	flat_load_dwordx4 v[32:35], v[4:5]
	flat_load_dwordx4 a[4:7], v[2:3]
	;; [unrolled: 1-line block ×3, first 2 shown]
	s_waitcnt vmcnt(0) lgkmcnt(0)
	v_cmp_gt_i16_sdwa s[6:7], v32, s24 src0_sel:BYTE_0 src1_sel:DWORD
	s_and_saveexec_b64 s[8:9], s[6:7]
	s_xor_b64 s[6:7], exec, s[8:9]
	s_cbranch_execnz .LBB4_1145
; %bb.123:                              ;   in Loop: Header=BB4_62 Depth=1
	s_or_saveexec_b64 s[6:7], s[6:7]
	v_mov_b32_e32 v0, s10
	s_xor_b64 exec, exec, s[6:7]
	s_cbranch_execnz .LBB4_1148
.LBB4_124:                              ;   in Loop: Header=BB4_62 Depth=1
	s_or_b64 exec, exec, s[6:7]
	s_and_saveexec_b64 s[6:7], s[4:5]
	s_cbranch_execz .LBB4_126
.LBB4_125:                              ;   in Loop: Header=BB4_62 Depth=1
	v_and_b32_e32 v0, 7, v32
	v_ffbh_u32_e32 v3, v0
	v_min_u32_e32 v3, 32, v3
	v_lshrrev_b16_e32 v2, 3, v32
	v_subrev_u32_e32 v4, 28, v3
	v_and_b32_e32 v2, 15, v2
	v_lshlrev_b32_e32 v4, v4, v0
	v_sub_u32_e32 v3, 29, v3
	v_and_b32_e32 v4, 7, v4
	v_cmp_eq_u16_e32 vcc, 0, v2
	v_lshrrev_b16_e32 v1, 7, v32
	v_cndmask_b32_e32 v0, v0, v4, vcc
	v_cndmask_b32_e32 v2, v2, v3, vcc
	v_lshlrev_b32_e32 v0, 20, v0
	v_lshlrev_b32_e32 v1, 31, v1
	v_lshl_add_u32 v2, v2, 23, v126
	v_or3_b32 v0, v1, v2, v0
.LBB4_126:                              ;   in Loop: Header=BB4_62 Depth=1
	s_or_b64 exec, exec, s[6:7]
	v_cmp_gt_i16_sdwa s[6:7], v32, s24 src0_sel:BYTE_1 src1_sel:DWORD
	s_mov_b64 s[4:5], 0
                                        ; implicit-def: $sgpr10
	s_and_saveexec_b64 s[8:9], s[6:7]
	s_xor_b64 s[6:7], exec, s[8:9]
	s_cbranch_execnz .LBB4_1149
; %bb.127:                              ;   in Loop: Header=BB4_62 Depth=1
	s_or_saveexec_b64 s[6:7], s[6:7]
	v_mov_b32_e32 v1, s10
	s_xor_b64 exec, exec, s[6:7]
	s_cbranch_execnz .LBB4_1152
.LBB4_128:                              ;   in Loop: Header=BB4_62 Depth=1
	s_or_b64 exec, exec, s[6:7]
	s_and_saveexec_b64 s[6:7], s[4:5]
	s_cbranch_execz .LBB4_130
.LBB4_129:                              ;   in Loop: Header=BB4_62 Depth=1
	v_and_b32_sdwa v1, v32, v116 dst_sel:DWORD dst_unused:UNUSED_PAD src0_sel:BYTE_1 src1_sel:DWORD
	v_ffbh_u32_e32 v4, v1
	v_min_u32_e32 v4, 32, v4
	v_lshrrev_b16_e32 v3, 11, v32
	v_subrev_u32_e32 v5, 28, v4
	v_and_b32_e32 v3, 15, v3
	v_lshlrev_b32_e32 v5, v5, v1
	v_sub_u32_e32 v4, 29, v4
	v_and_b32_e32 v5, 7, v5
	v_cmp_eq_u16_e32 vcc, 0, v3
	v_lshrrev_b16_e32 v2, 15, v32
	v_cndmask_b32_e32 v1, v1, v5, vcc
	v_cndmask_b32_e32 v3, v3, v4, vcc
	v_lshlrev_b32_e32 v1, 20, v1
	v_lshlrev_b32_e32 v2, 31, v2
	v_lshl_add_u32 v3, v3, 23, v126
	v_or3_b32 v1, v2, v3, v1
.LBB4_130:                              ;   in Loop: Header=BB4_62 Depth=1
	s_or_b64 exec, exec, s[6:7]
	v_and_b32_sdwa v3, v32, s23 dst_sel:DWORD dst_unused:UNUSED_PAD src0_sel:WORD_1 src1_sel:DWORD
	v_cmp_lt_i16_e32 vcc, s24, v3
	s_mov_b64 s[4:5], 0
                                        ; implicit-def: $sgpr10
	s_and_saveexec_b64 s[6:7], vcc
	s_xor_b64 s[6:7], exec, s[6:7]
	s_cbranch_execnz .LBB4_1153
; %bb.131:                              ;   in Loop: Header=BB4_62 Depth=1
	s_or_saveexec_b64 s[6:7], s[6:7]
	v_mov_b32_e32 v2, s10
	s_xor_b64 exec, exec, s[6:7]
	s_cbranch_execnz .LBB4_1156
.LBB4_132:                              ;   in Loop: Header=BB4_62 Depth=1
	s_or_b64 exec, exec, s[6:7]
	s_and_saveexec_b64 s[6:7], s[4:5]
	s_cbranch_execz .LBB4_134
.LBB4_133:                              ;   in Loop: Header=BB4_62 Depth=1
	v_and_b32_sdwa v2, v32, v116 dst_sel:DWORD dst_unused:UNUSED_PAD src0_sel:WORD_1 src1_sel:DWORD
	v_ffbh_u32_e32 v5, v2
	v_min_u32_e32 v5, 32, v5
	v_lshrrev_b16_sdwa v4, v117, v32 dst_sel:DWORD dst_unused:UNUSED_PAD src0_sel:DWORD src1_sel:WORD_1
	v_subrev_u32_e32 v6, 28, v5
	v_and_b32_e32 v4, 15, v4
	v_lshlrev_b32_e32 v6, v6, v2
	v_sub_u32_e32 v5, 29, v5
	v_and_b32_e32 v6, 7, v6
	v_cmp_eq_u16_e32 vcc, 0, v4
	v_lshrrev_b16_sdwa v3, v116, v32 dst_sel:DWORD dst_unused:UNUSED_PAD src0_sel:DWORD src1_sel:WORD_1
	v_cndmask_b32_e32 v2, v2, v6, vcc
	v_cndmask_b32_e32 v4, v4, v5, vcc
	v_lshlrev_b32_e32 v2, 20, v2
	v_lshlrev_b32_e32 v3, 31, v3
	v_lshl_add_u32 v4, v4, 23, v126
	v_or3_b32 v2, v3, v4, v2
.LBB4_134:                              ;   in Loop: Header=BB4_62 Depth=1
	s_or_b64 exec, exec, s[6:7]
	v_lshrrev_b16_sdwa v4, v124, v32 dst_sel:DWORD dst_unused:UNUSED_PAD src0_sel:DWORD src1_sel:WORD_1
	v_cmp_lt_i16_e32 vcc, s24, v4
	s_mov_b64 s[4:5], 0
                                        ; implicit-def: $sgpr10
	s_and_saveexec_b64 s[6:7], vcc
	s_xor_b64 s[6:7], exec, s[6:7]
	s_cbranch_execnz .LBB4_1157
; %bb.135:                              ;   in Loop: Header=BB4_62 Depth=1
	s_or_saveexec_b64 s[6:7], s[6:7]
	v_mov_b32_e32 v3, s10
	s_xor_b64 exec, exec, s[6:7]
	s_cbranch_execnz .LBB4_1160
.LBB4_136:                              ;   in Loop: Header=BB4_62 Depth=1
	s_or_b64 exec, exec, s[6:7]
	s_and_saveexec_b64 s[6:7], s[4:5]
	s_cbranch_execz .LBB4_138
.LBB4_137:                              ;   in Loop: Header=BB4_62 Depth=1
	v_and_b32_e32 v3, 7, v4
	v_ffbh_u32_e32 v6, v3
	v_min_u32_e32 v6, 32, v6
	v_lshrrev_b16_sdwa v5, v60, v32 dst_sel:DWORD dst_unused:UNUSED_PAD src0_sel:DWORD src1_sel:WORD_1
	v_subrev_u32_e32 v7, 28, v6
	v_and_b32_e32 v5, 15, v5
	v_lshlrev_b32_e32 v7, v7, v3
	v_sub_u32_e32 v6, 29, v6
	v_and_b32_e32 v7, 7, v7
	v_cmp_eq_u16_e32 vcc, 0, v5
	v_lshrrev_b16_sdwa v4, v44, v32 dst_sel:DWORD dst_unused:UNUSED_PAD src0_sel:DWORD src1_sel:WORD_1
	v_cndmask_b32_e32 v3, v3, v7, vcc
	v_cndmask_b32_e32 v5, v5, v6, vcc
	v_lshlrev_b32_e32 v3, 20, v3
	v_lshlrev_b32_e32 v4, 31, v4
	v_lshl_add_u32 v5, v5, 23, v126
	v_or3_b32 v3, v4, v5, v3
.LBB4_138:                              ;   in Loop: Header=BB4_62 Depth=1
	s_or_b64 exec, exec, s[6:7]
	v_cmp_gt_i16_sdwa s[6:7], v33, s24 src0_sel:BYTE_0 src1_sel:DWORD
	s_mov_b64 s[4:5], 0
                                        ; implicit-def: $sgpr10
	s_and_saveexec_b64 s[8:9], s[6:7]
	s_xor_b64 s[6:7], exec, s[8:9]
	s_cbranch_execnz .LBB4_1161
; %bb.139:                              ;   in Loop: Header=BB4_62 Depth=1
	s_or_saveexec_b64 s[6:7], s[6:7]
	v_mov_b32_e32 v32, s10
	s_xor_b64 exec, exec, s[6:7]
	s_cbranch_execnz .LBB4_1164
.LBB4_140:                              ;   in Loop: Header=BB4_62 Depth=1
	s_or_b64 exec, exec, s[6:7]
	s_and_saveexec_b64 s[6:7], s[4:5]
	s_cbranch_execz .LBB4_142
.LBB4_141:                              ;   in Loop: Header=BB4_62 Depth=1
	v_and_b32_e32 v4, 7, v33
	v_ffbh_u32_e32 v7, v4
	v_min_u32_e32 v7, 32, v7
	v_lshrrev_b16_e32 v6, 3, v33
	v_subrev_u32_e32 v8, 28, v7
	v_and_b32_e32 v6, 15, v6
	v_lshlrev_b32_e32 v8, v8, v4
	v_sub_u32_e32 v7, 29, v7
	v_and_b32_e32 v8, 7, v8
	v_cmp_eq_u16_e32 vcc, 0, v6
	v_lshrrev_b16_e32 v5, 7, v33
	v_cndmask_b32_e32 v4, v4, v8, vcc
	v_cndmask_b32_e32 v6, v6, v7, vcc
	v_lshlrev_b32_e32 v4, 20, v4
	v_lshlrev_b32_e32 v5, 31, v5
	v_lshl_add_u32 v6, v6, 23, v126
	v_or3_b32 v32, v5, v6, v4
.LBB4_142:                              ;   in Loop: Header=BB4_62 Depth=1
	s_or_b64 exec, exec, s[6:7]
	v_cmp_gt_i16_sdwa s[6:7], v33, s24 src0_sel:BYTE_1 src1_sel:DWORD
	s_mov_b64 s[4:5], 0
                                        ; implicit-def: $sgpr10
	s_and_saveexec_b64 s[8:9], s[6:7]
	s_xor_b64 s[6:7], exec, s[8:9]
	s_cbranch_execnz .LBB4_1165
; %bb.143:                              ;   in Loop: Header=BB4_62 Depth=1
	s_or_saveexec_b64 s[6:7], s[6:7]
	v_mov_b32_e32 v38, s10
	s_xor_b64 exec, exec, s[6:7]
	s_cbranch_execnz .LBB4_1168
.LBB4_144:                              ;   in Loop: Header=BB4_62 Depth=1
	s_or_b64 exec, exec, s[6:7]
	s_and_saveexec_b64 s[6:7], s[4:5]
	s_cbranch_execz .LBB4_146
.LBB4_145:                              ;   in Loop: Header=BB4_62 Depth=1
	v_and_b32_sdwa v4, v33, v116 dst_sel:DWORD dst_unused:UNUSED_PAD src0_sel:BYTE_1 src1_sel:DWORD
	v_ffbh_u32_e32 v7, v4
	v_min_u32_e32 v7, 32, v7
	v_lshrrev_b16_e32 v6, 11, v33
	v_subrev_u32_e32 v8, 28, v7
	v_and_b32_e32 v6, 15, v6
	v_lshlrev_b32_e32 v8, v8, v4
	v_sub_u32_e32 v7, 29, v7
	v_and_b32_e32 v8, 7, v8
	v_cmp_eq_u16_e32 vcc, 0, v6
	v_lshrrev_b16_e32 v5, 15, v33
	v_cndmask_b32_e32 v4, v4, v8, vcc
	v_cndmask_b32_e32 v6, v6, v7, vcc
	v_lshlrev_b32_e32 v4, 20, v4
	v_lshlrev_b32_e32 v5, 31, v5
	v_lshl_add_u32 v6, v6, 23, v126
	v_or3_b32 v38, v5, v6, v4
.LBB4_146:                              ;   in Loop: Header=BB4_62 Depth=1
	s_or_b64 exec, exec, s[6:7]
	v_and_b32_sdwa v4, v33, s23 dst_sel:DWORD dst_unused:UNUSED_PAD src0_sel:WORD_1 src1_sel:DWORD
	v_cmp_lt_i16_e32 vcc, s24, v4
	s_mov_b64 s[4:5], 0
                                        ; implicit-def: $sgpr10
	s_and_saveexec_b64 s[6:7], vcc
	s_xor_b64 s[6:7], exec, s[6:7]
	s_cbranch_execnz .LBB4_1169
; %bb.147:                              ;   in Loop: Header=BB4_62 Depth=1
	s_or_saveexec_b64 s[6:7], s[6:7]
	v_mov_b32_e32 v39, s10
	s_xor_b64 exec, exec, s[6:7]
	s_cbranch_execnz .LBB4_1172
.LBB4_148:                              ;   in Loop: Header=BB4_62 Depth=1
	s_or_b64 exec, exec, s[6:7]
	s_and_saveexec_b64 s[6:7], s[4:5]
	s_cbranch_execz .LBB4_150
.LBB4_149:                              ;   in Loop: Header=BB4_62 Depth=1
	v_and_b32_sdwa v4, v33, v116 dst_sel:DWORD dst_unused:UNUSED_PAD src0_sel:WORD_1 src1_sel:DWORD
	v_ffbh_u32_e32 v7, v4
	v_min_u32_e32 v7, 32, v7
	v_lshrrev_b16_sdwa v6, v117, v33 dst_sel:DWORD dst_unused:UNUSED_PAD src0_sel:DWORD src1_sel:WORD_1
	v_subrev_u32_e32 v8, 28, v7
	v_and_b32_e32 v6, 15, v6
	v_lshlrev_b32_e32 v8, v8, v4
	v_sub_u32_e32 v7, 29, v7
	v_and_b32_e32 v8, 7, v8
	v_cmp_eq_u16_e32 vcc, 0, v6
	v_lshrrev_b16_sdwa v5, v116, v33 dst_sel:DWORD dst_unused:UNUSED_PAD src0_sel:DWORD src1_sel:WORD_1
	v_cndmask_b32_e32 v4, v4, v8, vcc
	v_cndmask_b32_e32 v6, v6, v7, vcc
	v_lshlrev_b32_e32 v4, 20, v4
	v_lshlrev_b32_e32 v5, 31, v5
	v_lshl_add_u32 v6, v6, 23, v126
	v_or3_b32 v39, v5, v6, v4
.LBB4_150:                              ;   in Loop: Header=BB4_62 Depth=1
	s_or_b64 exec, exec, s[6:7]
	v_lshrrev_b16_sdwa v4, v124, v33 dst_sel:DWORD dst_unused:UNUSED_PAD src0_sel:DWORD src1_sel:WORD_1
	v_cmp_lt_i16_e32 vcc, s24, v4
	s_mov_b64 s[4:5], 0
                                        ; implicit-def: $sgpr10
	s_and_saveexec_b64 s[6:7], vcc
	s_xor_b64 s[6:7], exec, s[6:7]
	s_cbranch_execnz .LBB4_1173
; %bb.151:                              ;   in Loop: Header=BB4_62 Depth=1
	s_or_saveexec_b64 s[6:7], s[6:7]
	v_mov_b32_e32 v48, s10
	s_xor_b64 exec, exec, s[6:7]
	s_cbranch_execnz .LBB4_1176
.LBB4_152:                              ;   in Loop: Header=BB4_62 Depth=1
	s_or_b64 exec, exec, s[6:7]
	s_and_saveexec_b64 s[6:7], s[4:5]
	s_cbranch_execz .LBB4_154
.LBB4_153:                              ;   in Loop: Header=BB4_62 Depth=1
	v_and_b32_e32 v4, 7, v4
	v_ffbh_u32_e32 v7, v4
	v_min_u32_e32 v7, 32, v7
	v_lshrrev_b16_sdwa v6, v60, v33 dst_sel:DWORD dst_unused:UNUSED_PAD src0_sel:DWORD src1_sel:WORD_1
	v_subrev_u32_e32 v8, 28, v7
	v_and_b32_e32 v6, 15, v6
	v_lshlrev_b32_e32 v8, v8, v4
	v_sub_u32_e32 v7, 29, v7
	v_and_b32_e32 v8, 7, v8
	v_cmp_eq_u16_e32 vcc, 0, v6
	v_lshrrev_b16_sdwa v5, v44, v33 dst_sel:DWORD dst_unused:UNUSED_PAD src0_sel:DWORD src1_sel:WORD_1
	v_cndmask_b32_e32 v4, v4, v8, vcc
	v_cndmask_b32_e32 v6, v6, v7, vcc
	v_lshlrev_b32_e32 v4, 20, v4
	v_lshlrev_b32_e32 v5, 31, v5
	v_lshl_add_u32 v6, v6, 23, v126
	v_or3_b32 v48, v5, v6, v4
.LBB4_154:                              ;   in Loop: Header=BB4_62 Depth=1
	s_or_b64 exec, exec, s[6:7]
	v_cmp_gt_i16_sdwa s[6:7], v34, s24 src0_sel:BYTE_0 src1_sel:DWORD
	s_mov_b64 s[4:5], 0
                                        ; implicit-def: $sgpr10
	s_and_saveexec_b64 s[8:9], s[6:7]
	s_xor_b64 s[6:7], exec, s[8:9]
	s_cbranch_execnz .LBB4_1177
; %bb.155:                              ;   in Loop: Header=BB4_62 Depth=1
	s_or_saveexec_b64 s[6:7], s[6:7]
	v_mov_b32_e32 v33, s10
	s_xor_b64 exec, exec, s[6:7]
	s_cbranch_execnz .LBB4_1180
.LBB4_156:                              ;   in Loop: Header=BB4_62 Depth=1
	s_or_b64 exec, exec, s[6:7]
	s_and_saveexec_b64 s[6:7], s[4:5]
	s_cbranch_execz .LBB4_158
.LBB4_157:                              ;   in Loop: Header=BB4_62 Depth=1
	v_and_b32_e32 v4, 7, v34
	v_ffbh_u32_e32 v7, v4
	v_min_u32_e32 v7, 32, v7
	v_lshrrev_b16_e32 v6, 3, v34
	v_subrev_u32_e32 v8, 28, v7
	v_and_b32_e32 v6, 15, v6
	v_lshlrev_b32_e32 v8, v8, v4
	v_sub_u32_e32 v7, 29, v7
	v_and_b32_e32 v8, 7, v8
	v_cmp_eq_u16_e32 vcc, 0, v6
	v_lshrrev_b16_e32 v5, 7, v34
	v_cndmask_b32_e32 v4, v4, v8, vcc
	v_cndmask_b32_e32 v6, v6, v7, vcc
	v_lshlrev_b32_e32 v4, 20, v4
	v_lshlrev_b32_e32 v5, 31, v5
	v_lshl_add_u32 v6, v6, 23, v126
	v_or3_b32 v33, v5, v6, v4
.LBB4_158:                              ;   in Loop: Header=BB4_62 Depth=1
	s_or_b64 exec, exec, s[6:7]
	v_cmp_gt_i16_sdwa s[6:7], v34, s24 src0_sel:BYTE_1 src1_sel:DWORD
	s_mov_b64 s[4:5], 0
                                        ; implicit-def: $sgpr10
	s_and_saveexec_b64 s[8:9], s[6:7]
	s_xor_b64 s[6:7], exec, s[8:9]
	s_cbranch_execnz .LBB4_1181
; %bb.159:                              ;   in Loop: Header=BB4_62 Depth=1
	s_or_saveexec_b64 s[6:7], s[6:7]
	v_mov_b32_e32 v49, s10
	s_xor_b64 exec, exec, s[6:7]
	s_cbranch_execnz .LBB4_1184
.LBB4_160:                              ;   in Loop: Header=BB4_62 Depth=1
	s_or_b64 exec, exec, s[6:7]
	s_and_saveexec_b64 s[6:7], s[4:5]
	s_cbranch_execz .LBB4_162
.LBB4_161:                              ;   in Loop: Header=BB4_62 Depth=1
	v_and_b32_sdwa v4, v34, v116 dst_sel:DWORD dst_unused:UNUSED_PAD src0_sel:BYTE_1 src1_sel:DWORD
	v_ffbh_u32_e32 v7, v4
	v_min_u32_e32 v7, 32, v7
	v_lshrrev_b16_e32 v6, 11, v34
	v_subrev_u32_e32 v8, 28, v7
	v_and_b32_e32 v6, 15, v6
	v_lshlrev_b32_e32 v8, v8, v4
	v_sub_u32_e32 v7, 29, v7
	v_and_b32_e32 v8, 7, v8
	v_cmp_eq_u16_e32 vcc, 0, v6
	v_lshrrev_b16_e32 v5, 15, v34
	v_cndmask_b32_e32 v4, v4, v8, vcc
	v_cndmask_b32_e32 v6, v6, v7, vcc
	v_lshlrev_b32_e32 v4, 20, v4
	v_lshlrev_b32_e32 v5, 31, v5
	v_lshl_add_u32 v6, v6, 23, v126
	v_or3_b32 v49, v5, v6, v4
.LBB4_162:                              ;   in Loop: Header=BB4_62 Depth=1
	s_or_b64 exec, exec, s[6:7]
	v_and_b32_sdwa v4, v34, s23 dst_sel:DWORD dst_unused:UNUSED_PAD src0_sel:WORD_1 src1_sel:DWORD
	v_cmp_lt_i16_e32 vcc, s24, v4
	s_mov_b64 s[4:5], 0
                                        ; implicit-def: $sgpr10
	s_and_saveexec_b64 s[6:7], vcc
	s_xor_b64 s[6:7], exec, s[6:7]
	s_cbranch_execnz .LBB4_1185
; %bb.163:                              ;   in Loop: Header=BB4_62 Depth=1
	s_or_saveexec_b64 s[6:7], s[6:7]
	v_mov_b32_e32 v50, s10
	s_xor_b64 exec, exec, s[6:7]
	s_cbranch_execnz .LBB4_1188
.LBB4_164:                              ;   in Loop: Header=BB4_62 Depth=1
	s_or_b64 exec, exec, s[6:7]
	s_and_saveexec_b64 s[6:7], s[4:5]
	s_cbranch_execz .LBB4_166
.LBB4_165:                              ;   in Loop: Header=BB4_62 Depth=1
	v_and_b32_sdwa v4, v34, v116 dst_sel:DWORD dst_unused:UNUSED_PAD src0_sel:WORD_1 src1_sel:DWORD
	v_ffbh_u32_e32 v7, v4
	v_min_u32_e32 v7, 32, v7
	v_lshrrev_b16_sdwa v6, v117, v34 dst_sel:DWORD dst_unused:UNUSED_PAD src0_sel:DWORD src1_sel:WORD_1
	v_subrev_u32_e32 v8, 28, v7
	v_and_b32_e32 v6, 15, v6
	v_lshlrev_b32_e32 v8, v8, v4
	v_sub_u32_e32 v7, 29, v7
	v_and_b32_e32 v8, 7, v8
	v_cmp_eq_u16_e32 vcc, 0, v6
	v_lshrrev_b16_sdwa v5, v116, v34 dst_sel:DWORD dst_unused:UNUSED_PAD src0_sel:DWORD src1_sel:WORD_1
	v_cndmask_b32_e32 v4, v4, v8, vcc
	v_cndmask_b32_e32 v6, v6, v7, vcc
	v_lshlrev_b32_e32 v4, 20, v4
	v_lshlrev_b32_e32 v5, 31, v5
	v_lshl_add_u32 v6, v6, 23, v126
	v_or3_b32 v50, v5, v6, v4
.LBB4_166:                              ;   in Loop: Header=BB4_62 Depth=1
	s_or_b64 exec, exec, s[6:7]
	v_lshrrev_b16_sdwa v5, v124, v34 dst_sel:DWORD dst_unused:UNUSED_PAD src0_sel:DWORD src1_sel:WORD_1
	v_cmp_lt_i16_e32 vcc, s24, v5
	s_mov_b64 s[4:5], 0
                                        ; implicit-def: $sgpr10
	s_and_saveexec_b64 s[6:7], vcc
	s_xor_b64 s[6:7], exec, s[6:7]
	s_cbranch_execnz .LBB4_1189
; %bb.167:                              ;   in Loop: Header=BB4_62 Depth=1
	s_or_saveexec_b64 s[6:7], s[6:7]
	v_mov_b32_e32 v4, s10
	s_xor_b64 exec, exec, s[6:7]
	s_cbranch_execnz .LBB4_1192
.LBB4_168:                              ;   in Loop: Header=BB4_62 Depth=1
	s_or_b64 exec, exec, s[6:7]
	s_and_saveexec_b64 s[6:7], s[4:5]
	s_cbranch_execz .LBB4_170
.LBB4_169:                              ;   in Loop: Header=BB4_62 Depth=1
	v_and_b32_e32 v4, 7, v5
	v_ffbh_u32_e32 v7, v4
	v_min_u32_e32 v7, 32, v7
	v_lshrrev_b16_sdwa v6, v60, v34 dst_sel:DWORD dst_unused:UNUSED_PAD src0_sel:DWORD src1_sel:WORD_1
	v_subrev_u32_e32 v8, 28, v7
	v_and_b32_e32 v6, 15, v6
	v_lshlrev_b32_e32 v8, v8, v4
	v_sub_u32_e32 v7, 29, v7
	v_and_b32_e32 v8, 7, v8
	v_cmp_eq_u16_e32 vcc, 0, v6
	v_lshrrev_b16_sdwa v5, v44, v34 dst_sel:DWORD dst_unused:UNUSED_PAD src0_sel:DWORD src1_sel:WORD_1
	v_cndmask_b32_e32 v4, v4, v8, vcc
	v_cndmask_b32_e32 v6, v6, v7, vcc
	v_lshlrev_b32_e32 v4, 20, v4
	v_lshlrev_b32_e32 v5, 31, v5
	v_lshl_add_u32 v6, v6, 23, v126
	v_or3_b32 v4, v5, v6, v4
.LBB4_170:                              ;   in Loop: Header=BB4_62 Depth=1
	s_or_b64 exec, exec, s[6:7]
	v_cmp_gt_i16_sdwa s[6:7], v35, s24 src0_sel:BYTE_0 src1_sel:DWORD
	s_mov_b64 s[4:5], 0
                                        ; implicit-def: $sgpr10
	s_and_saveexec_b64 s[8:9], s[6:7]
	s_xor_b64 s[6:7], exec, s[8:9]
	s_cbranch_execnz .LBB4_1193
; %bb.171:                              ;   in Loop: Header=BB4_62 Depth=1
	s_or_saveexec_b64 s[6:7], s[6:7]
	v_mov_b32_e32 v5, s10
	s_xor_b64 exec, exec, s[6:7]
	s_cbranch_execnz .LBB4_1196
.LBB4_172:                              ;   in Loop: Header=BB4_62 Depth=1
	s_or_b64 exec, exec, s[6:7]
	s_and_saveexec_b64 s[6:7], s[4:5]
	s_cbranch_execz .LBB4_174
.LBB4_173:                              ;   in Loop: Header=BB4_62 Depth=1
	v_and_b32_e32 v5, 7, v35
	v_ffbh_u32_e32 v8, v5
	v_min_u32_e32 v8, 32, v8
	v_lshrrev_b16_e32 v7, 3, v35
	v_subrev_u32_e32 v9, 28, v8
	v_and_b32_e32 v7, 15, v7
	v_lshlrev_b32_e32 v9, v9, v5
	v_sub_u32_e32 v8, 29, v8
	v_and_b32_e32 v9, 7, v9
	v_cmp_eq_u16_e32 vcc, 0, v7
	v_lshrrev_b16_e32 v6, 7, v35
	v_cndmask_b32_e32 v5, v5, v9, vcc
	v_cndmask_b32_e32 v7, v7, v8, vcc
	v_lshlrev_b32_e32 v5, 20, v5
	v_lshlrev_b32_e32 v6, 31, v6
	v_lshl_add_u32 v7, v7, 23, v126
	v_or3_b32 v5, v6, v7, v5
.LBB4_174:                              ;   in Loop: Header=BB4_62 Depth=1
	s_or_b64 exec, exec, s[6:7]
	v_cmp_gt_i16_sdwa s[6:7], v35, s24 src0_sel:BYTE_1 src1_sel:DWORD
	s_mov_b64 s[4:5], 0
                                        ; implicit-def: $sgpr10
	s_and_saveexec_b64 s[8:9], s[6:7]
	s_xor_b64 s[6:7], exec, s[8:9]
	s_cbranch_execnz .LBB4_1197
; %bb.175:                              ;   in Loop: Header=BB4_62 Depth=1
	s_or_saveexec_b64 s[6:7], s[6:7]
	v_mov_b32_e32 v6, s10
	s_xor_b64 exec, exec, s[6:7]
	s_cbranch_execnz .LBB4_1200
.LBB4_176:                              ;   in Loop: Header=BB4_62 Depth=1
	s_or_b64 exec, exec, s[6:7]
	s_and_saveexec_b64 s[6:7], s[4:5]
	s_cbranch_execz .LBB4_178
.LBB4_177:                              ;   in Loop: Header=BB4_62 Depth=1
	v_and_b32_sdwa v6, v35, v116 dst_sel:DWORD dst_unused:UNUSED_PAD src0_sel:BYTE_1 src1_sel:DWORD
	v_ffbh_u32_e32 v9, v6
	v_min_u32_e32 v9, 32, v9
	v_lshrrev_b16_e32 v8, 11, v35
	v_subrev_u32_e32 v10, 28, v9
	v_and_b32_e32 v8, 15, v8
	v_lshlrev_b32_e32 v10, v10, v6
	v_sub_u32_e32 v9, 29, v9
	v_and_b32_e32 v10, 7, v10
	v_cmp_eq_u16_e32 vcc, 0, v8
	v_lshrrev_b16_e32 v7, 15, v35
	v_cndmask_b32_e32 v6, v6, v10, vcc
	v_cndmask_b32_e32 v8, v8, v9, vcc
	v_lshlrev_b32_e32 v6, 20, v6
	v_lshlrev_b32_e32 v7, 31, v7
	v_lshl_add_u32 v8, v8, 23, v126
	v_or3_b32 v6, v7, v8, v6
.LBB4_178:                              ;   in Loop: Header=BB4_62 Depth=1
	s_or_b64 exec, exec, s[6:7]
	v_and_b32_sdwa v8, v35, s23 dst_sel:DWORD dst_unused:UNUSED_PAD src0_sel:WORD_1 src1_sel:DWORD
	v_cmp_lt_i16_e32 vcc, s24, v8
	s_mov_b64 s[4:5], 0
                                        ; implicit-def: $sgpr10
	s_and_saveexec_b64 s[6:7], vcc
	s_xor_b64 s[6:7], exec, s[6:7]
	s_cbranch_execnz .LBB4_1201
; %bb.179:                              ;   in Loop: Header=BB4_62 Depth=1
	s_or_saveexec_b64 s[6:7], s[6:7]
	v_mov_b32_e32 v7, s10
	s_xor_b64 exec, exec, s[6:7]
	s_cbranch_execnz .LBB4_1204
.LBB4_180:                              ;   in Loop: Header=BB4_62 Depth=1
	s_or_b64 exec, exec, s[6:7]
	s_and_saveexec_b64 s[6:7], s[4:5]
	s_cbranch_execz .LBB4_182
.LBB4_181:                              ;   in Loop: Header=BB4_62 Depth=1
	v_and_b32_sdwa v7, v35, v116 dst_sel:DWORD dst_unused:UNUSED_PAD src0_sel:WORD_1 src1_sel:DWORD
	v_ffbh_u32_e32 v10, v7
	v_min_u32_e32 v10, 32, v10
	v_lshrrev_b16_sdwa v9, v117, v35 dst_sel:DWORD dst_unused:UNUSED_PAD src0_sel:DWORD src1_sel:WORD_1
	v_subrev_u32_e32 v11, 28, v10
	v_and_b32_e32 v9, 15, v9
	v_lshlrev_b32_e32 v11, v11, v7
	v_sub_u32_e32 v10, 29, v10
	v_and_b32_e32 v11, 7, v11
	v_cmp_eq_u16_e32 vcc, 0, v9
	v_lshrrev_b16_sdwa v8, v116, v35 dst_sel:DWORD dst_unused:UNUSED_PAD src0_sel:DWORD src1_sel:WORD_1
	v_cndmask_b32_e32 v7, v7, v11, vcc
	v_cndmask_b32_e32 v9, v9, v10, vcc
	v_lshlrev_b32_e32 v7, 20, v7
	v_lshlrev_b32_e32 v8, 31, v8
	v_lshl_add_u32 v9, v9, 23, v126
	v_or3_b32 v7, v8, v9, v7
.LBB4_182:                              ;   in Loop: Header=BB4_62 Depth=1
	s_or_b64 exec, exec, s[6:7]
	v_lshrrev_b16_sdwa v34, v124, v35 dst_sel:DWORD dst_unused:UNUSED_PAD src0_sel:DWORD src1_sel:WORD_1
	v_cmp_lt_i16_e32 vcc, s24, v34
	s_mov_b64 s[4:5], 0
                                        ; implicit-def: $sgpr10
	s_and_saveexec_b64 s[6:7], vcc
	s_xor_b64 s[6:7], exec, s[6:7]
	s_cbranch_execnz .LBB4_1205
; %bb.183:                              ;   in Loop: Header=BB4_62 Depth=1
	s_or_saveexec_b64 s[6:7], s[6:7]
	v_mov_b32_e32 v51, s10
	s_xor_b64 exec, exec, s[6:7]
	s_cbranch_execnz .LBB4_1208
.LBB4_184:                              ;   in Loop: Header=BB4_62 Depth=1
	s_or_b64 exec, exec, s[6:7]
	s_and_saveexec_b64 s[6:7], s[4:5]
	s_cbranch_execz .LBB4_186
.LBB4_185:                              ;   in Loop: Header=BB4_62 Depth=1
	v_and_b32_e32 v8, 7, v34
	v_ffbh_u32_e32 v11, v8
	v_min_u32_e32 v11, 32, v11
	v_lshrrev_b16_sdwa v10, v60, v35 dst_sel:DWORD dst_unused:UNUSED_PAD src0_sel:DWORD src1_sel:WORD_1
	v_subrev_u32_e32 v34, 28, v11
	v_and_b32_e32 v10, 15, v10
	v_lshlrev_b32_e32 v34, v34, v8
	v_sub_u32_e32 v11, 29, v11
	v_and_b32_e32 v34, 7, v34
	v_cmp_eq_u16_e32 vcc, 0, v10
	v_lshrrev_b16_sdwa v9, v44, v35 dst_sel:DWORD dst_unused:UNUSED_PAD src0_sel:DWORD src1_sel:WORD_1
	v_cndmask_b32_e32 v8, v8, v34, vcc
	v_cndmask_b32_e32 v10, v10, v11, vcc
	v_lshlrev_b32_e32 v8, 20, v8
	v_lshlrev_b32_e32 v9, 31, v9
	v_lshl_add_u32 v10, v10, 23, v126
	v_or3_b32 v51, v9, v10, v8
.LBB4_186:                              ;   in Loop: Header=BB4_62 Depth=1
	s_or_b64 exec, exec, s[6:7]
	v_cvt_pkrtz_f16_f32 v0, v0, v1
	v_cvt_pkrtz_f16_f32 v1, v2, v3
	;; [unrolled: 1-line block ×8, first 2 shown]
	buffer_store_dword v1, off, s[0:3], s33 offset:4
	buffer_store_dword v0, off, s[0:3], s33
	buffer_store_dword v3, off, s[0:3], s33 offset:12
	buffer_store_dword v2, off, s[0:3], s33 offset:8
	;; [unrolled: 1-line block ×6, first 2 shown]
	flat_load_dwordx2 v[48:49], v[102:103] offset:332
	flat_load_dwordx2 v[50:51], v[102:103] offset:296
	flat_load_dword v55, v[102:103] offset:324
	flat_load_dwordx2 v[38:39], v[102:103] offset:284
	s_mov_b64 s[4:5], 0
                                        ; implicit-def: $sgpr10
	s_waitcnt vmcnt(0) lgkmcnt(0)
	v_add_u32_e32 v0, 16, v49
	v_ashrrev_i32_e32 v1, 31, v50
	v_ashrrev_i32_e32 v3, 31, v0
	v_sub_u32_e32 v2, v50, v39
	v_lshrrev_b32_e32 v1, 28, v1
	v_lshl_add_u32 v2, v2, 8, v54
	v_lshrrev_b32_e32 v3, 28, v3
	v_add_u32_e32 v1, v50, v1
	v_sub_u32_e32 v53, v2, v48
	v_add_u32_e32 v2, v0, v3
	v_sub_u32_e32 v52, v51, v55
	v_and_b32_e32 v3, -16, v1
	v_ashrrev_i32_e32 v1, 4, v2
	v_and_b32_e32 v2, -16, v2
	v_sub_u32_e32 v65, v50, v3
	v_sub_u32_e32 v0, v0, v2
	v_add_u32_e32 v2, v1, v52
	v_xor_b32_e32 v2, v2, v65
	v_sub_u32_e32 v2, v2, v38
	v_lshlrev_b32_e32 v2, 4, v2
	v_add3_u32 v2, v0, v53, v2
	v_ashrrev_i32_e32 v3, 31, v2
	v_add_co_u32_e32 v2, vcc, v36, v2
	v_addc_co_u32_e32 v3, vcc, v37, v3, vcc
	flat_load_dwordx4 v[32:35], v[2:3]
	s_waitcnt vmcnt(0) lgkmcnt(0)
	v_cmp_gt_i16_sdwa s[6:7], v32, s24 src0_sel:BYTE_0 src1_sel:DWORD
	s_and_saveexec_b64 s[8:9], s[6:7]
	s_xor_b64 s[6:7], exec, s[8:9]
	s_cbranch_execnz .LBB4_1209
; %bb.187:                              ;   in Loop: Header=BB4_62 Depth=1
	s_or_saveexec_b64 s[6:7], s[6:7]
	v_mov_b32_e32 v2, s10
	s_xor_b64 exec, exec, s[6:7]
	s_cbranch_execnz .LBB4_1212
.LBB4_188:                              ;   in Loop: Header=BB4_62 Depth=1
	s_or_b64 exec, exec, s[6:7]
	s_and_saveexec_b64 s[6:7], s[4:5]
	s_cbranch_execz .LBB4_190
.LBB4_189:                              ;   in Loop: Header=BB4_62 Depth=1
	v_and_b32_e32 v2, 7, v32
	v_ffbh_u32_e32 v5, v2
	v_min_u32_e32 v5, 32, v5
	v_lshrrev_b16_e32 v4, 3, v32
	v_subrev_u32_e32 v6, 28, v5
	v_and_b32_e32 v4, 15, v4
	v_lshlrev_b32_e32 v6, v6, v2
	v_sub_u32_e32 v5, 29, v5
	v_and_b32_e32 v6, 7, v6
	v_cmp_eq_u16_e32 vcc, 0, v4
	v_lshrrev_b16_e32 v3, 7, v32
	v_cndmask_b32_e32 v2, v2, v6, vcc
	v_cndmask_b32_e32 v4, v4, v5, vcc
	v_lshlrev_b32_e32 v2, 20, v2
	v_lshlrev_b32_e32 v3, 31, v3
	v_lshl_add_u32 v4, v4, 23, v126
	v_or3_b32 v2, v3, v4, v2
.LBB4_190:                              ;   in Loop: Header=BB4_62 Depth=1
	s_or_b64 exec, exec, s[6:7]
	v_cmp_gt_i16_sdwa s[6:7], v32, s24 src0_sel:BYTE_1 src1_sel:DWORD
	s_mov_b64 s[4:5], 0
                                        ; implicit-def: $sgpr10
	s_and_saveexec_b64 s[8:9], s[6:7]
	s_xor_b64 s[6:7], exec, s[8:9]
	s_cbranch_execnz .LBB4_1213
; %bb.191:                              ;   in Loop: Header=BB4_62 Depth=1
	s_or_saveexec_b64 s[6:7], s[6:7]
	v_mov_b32_e32 v3, s10
	s_xor_b64 exec, exec, s[6:7]
	s_cbranch_execnz .LBB4_1216
.LBB4_192:                              ;   in Loop: Header=BB4_62 Depth=1
	s_or_b64 exec, exec, s[6:7]
	s_and_saveexec_b64 s[6:7], s[4:5]
	s_cbranch_execz .LBB4_194
.LBB4_193:                              ;   in Loop: Header=BB4_62 Depth=1
	v_and_b32_sdwa v3, v32, v116 dst_sel:DWORD dst_unused:UNUSED_PAD src0_sel:BYTE_1 src1_sel:DWORD
	v_ffbh_u32_e32 v6, v3
	v_min_u32_e32 v6, 32, v6
	v_lshrrev_b16_e32 v5, 11, v32
	v_subrev_u32_e32 v7, 28, v6
	v_and_b32_e32 v5, 15, v5
	v_lshlrev_b32_e32 v7, v7, v3
	v_sub_u32_e32 v6, 29, v6
	v_and_b32_e32 v7, 7, v7
	v_cmp_eq_u16_e32 vcc, 0, v5
	v_lshrrev_b16_e32 v4, 15, v32
	v_cndmask_b32_e32 v3, v3, v7, vcc
	v_cndmask_b32_e32 v5, v5, v6, vcc
	v_lshlrev_b32_e32 v3, 20, v3
	v_lshlrev_b32_e32 v4, 31, v4
	v_lshl_add_u32 v5, v5, 23, v126
	v_or3_b32 v3, v4, v5, v3
.LBB4_194:                              ;   in Loop: Header=BB4_62 Depth=1
	s_or_b64 exec, exec, s[6:7]
	v_and_b32_sdwa v4, v32, s23 dst_sel:DWORD dst_unused:UNUSED_PAD src0_sel:WORD_1 src1_sel:DWORD
	v_cmp_lt_i16_e32 vcc, s24, v4
	s_mov_b64 s[4:5], 0
                                        ; implicit-def: $sgpr10
	s_and_saveexec_b64 s[6:7], vcc
	s_xor_b64 s[6:7], exec, s[6:7]
	s_cbranch_execnz .LBB4_1217
; %bb.195:                              ;   in Loop: Header=BB4_62 Depth=1
	s_or_saveexec_b64 s[6:7], s[6:7]
	v_mov_b32_e32 v64, s10
	s_xor_b64 exec, exec, s[6:7]
	s_cbranch_execnz .LBB4_1220
.LBB4_196:                              ;   in Loop: Header=BB4_62 Depth=1
	s_or_b64 exec, exec, s[6:7]
	s_and_saveexec_b64 s[6:7], s[4:5]
	s_cbranch_execz .LBB4_198
.LBB4_197:                              ;   in Loop: Header=BB4_62 Depth=1
	v_and_b32_sdwa v4, v32, v116 dst_sel:DWORD dst_unused:UNUSED_PAD src0_sel:WORD_1 src1_sel:DWORD
	v_ffbh_u32_e32 v7, v4
	v_min_u32_e32 v7, 32, v7
	v_lshrrev_b16_sdwa v6, v117, v32 dst_sel:DWORD dst_unused:UNUSED_PAD src0_sel:DWORD src1_sel:WORD_1
	v_subrev_u32_e32 v8, 28, v7
	v_and_b32_e32 v6, 15, v6
	v_lshlrev_b32_e32 v8, v8, v4
	v_sub_u32_e32 v7, 29, v7
	v_and_b32_e32 v8, 7, v8
	v_cmp_eq_u16_e32 vcc, 0, v6
	v_lshrrev_b16_sdwa v5, v116, v32 dst_sel:DWORD dst_unused:UNUSED_PAD src0_sel:DWORD src1_sel:WORD_1
	v_cndmask_b32_e32 v4, v4, v8, vcc
	v_cndmask_b32_e32 v6, v6, v7, vcc
	v_lshlrev_b32_e32 v4, 20, v4
	v_lshlrev_b32_e32 v5, 31, v5
	v_lshl_add_u32 v6, v6, 23, v126
	v_or3_b32 v64, v5, v6, v4
.LBB4_198:                              ;   in Loop: Header=BB4_62 Depth=1
	s_or_b64 exec, exec, s[6:7]
	v_lshrrev_b16_sdwa v4, v124, v32 dst_sel:DWORD dst_unused:UNUSED_PAD src0_sel:DWORD src1_sel:WORD_1
	v_cmp_lt_i16_e32 vcc, s24, v4
	s_mov_b64 s[4:5], 0
                                        ; implicit-def: $sgpr10
	s_and_saveexec_b64 s[6:7], vcc
	s_xor_b64 s[6:7], exec, s[6:7]
	s_cbranch_execnz .LBB4_1221
; %bb.199:                              ;   in Loop: Header=BB4_62 Depth=1
	s_or_saveexec_b64 s[6:7], s[6:7]
	v_mov_b32_e32 v66, s10
	s_xor_b64 exec, exec, s[6:7]
	s_cbranch_execnz .LBB4_1224
.LBB4_200:                              ;   in Loop: Header=BB4_62 Depth=1
	s_or_b64 exec, exec, s[6:7]
	s_and_saveexec_b64 s[6:7], s[4:5]
	s_cbranch_execz .LBB4_202
.LBB4_201:                              ;   in Loop: Header=BB4_62 Depth=1
	v_and_b32_e32 v4, 7, v4
	v_ffbh_u32_e32 v7, v4
	v_min_u32_e32 v7, 32, v7
	v_lshrrev_b16_sdwa v6, v60, v32 dst_sel:DWORD dst_unused:UNUSED_PAD src0_sel:DWORD src1_sel:WORD_1
	v_subrev_u32_e32 v8, 28, v7
	v_and_b32_e32 v6, 15, v6
	v_lshlrev_b32_e32 v8, v8, v4
	v_sub_u32_e32 v7, 29, v7
	v_and_b32_e32 v8, 7, v8
	v_cmp_eq_u16_e32 vcc, 0, v6
	v_lshrrev_b16_sdwa v5, v44, v32 dst_sel:DWORD dst_unused:UNUSED_PAD src0_sel:DWORD src1_sel:WORD_1
	v_cndmask_b32_e32 v4, v4, v8, vcc
	v_cndmask_b32_e32 v6, v6, v7, vcc
	v_lshlrev_b32_e32 v4, 20, v4
	v_lshlrev_b32_e32 v5, 31, v5
	v_lshl_add_u32 v6, v6, 23, v126
	v_or3_b32 v66, v5, v6, v4
.LBB4_202:                              ;   in Loop: Header=BB4_62 Depth=1
	s_or_b64 exec, exec, s[6:7]
	v_cmp_gt_i16_sdwa s[6:7], v33, s24 src0_sel:BYTE_0 src1_sel:DWORD
	s_mov_b64 s[4:5], 0
                                        ; implicit-def: $sgpr10
	s_and_saveexec_b64 s[8:9], s[6:7]
	s_xor_b64 s[6:7], exec, s[8:9]
	s_cbranch_execnz .LBB4_1225
; %bb.203:                              ;   in Loop: Header=BB4_62 Depth=1
	s_or_saveexec_b64 s[6:7], s[6:7]
	v_mov_b32_e32 v32, s10
	s_xor_b64 exec, exec, s[6:7]
	s_cbranch_execnz .LBB4_1228
.LBB4_204:                              ;   in Loop: Header=BB4_62 Depth=1
	s_or_b64 exec, exec, s[6:7]
	s_and_saveexec_b64 s[6:7], s[4:5]
	s_cbranch_execz .LBB4_206
.LBB4_205:                              ;   in Loop: Header=BB4_62 Depth=1
	v_and_b32_e32 v4, 7, v33
	v_ffbh_u32_e32 v7, v4
	v_min_u32_e32 v7, 32, v7
	v_lshrrev_b16_e32 v6, 3, v33
	v_subrev_u32_e32 v8, 28, v7
	v_and_b32_e32 v6, 15, v6
	v_lshlrev_b32_e32 v8, v8, v4
	v_sub_u32_e32 v7, 29, v7
	v_and_b32_e32 v8, 7, v8
	v_cmp_eq_u16_e32 vcc, 0, v6
	v_lshrrev_b16_e32 v5, 7, v33
	v_cndmask_b32_e32 v4, v4, v8, vcc
	v_cndmask_b32_e32 v6, v6, v7, vcc
	v_lshlrev_b32_e32 v4, 20, v4
	v_lshlrev_b32_e32 v5, 31, v5
	v_lshl_add_u32 v6, v6, 23, v126
	v_or3_b32 v32, v5, v6, v4
.LBB4_206:                              ;   in Loop: Header=BB4_62 Depth=1
	s_or_b64 exec, exec, s[6:7]
	v_cmp_gt_i16_sdwa s[6:7], v33, s24 src0_sel:BYTE_1 src1_sel:DWORD
	s_mov_b64 s[4:5], 0
                                        ; implicit-def: $sgpr10
	s_and_saveexec_b64 s[8:9], s[6:7]
	s_xor_b64 s[6:7], exec, s[8:9]
	s_cbranch_execnz .LBB4_1229
; %bb.207:                              ;   in Loop: Header=BB4_62 Depth=1
	s_or_saveexec_b64 s[6:7], s[6:7]
	v_mov_b32_e32 v67, s10
	s_xor_b64 exec, exec, s[6:7]
	s_cbranch_execnz .LBB4_1232
.LBB4_208:                              ;   in Loop: Header=BB4_62 Depth=1
	s_or_b64 exec, exec, s[6:7]
	s_and_saveexec_b64 s[6:7], s[4:5]
	s_cbranch_execz .LBB4_210
.LBB4_209:                              ;   in Loop: Header=BB4_62 Depth=1
	v_and_b32_sdwa v4, v33, v116 dst_sel:DWORD dst_unused:UNUSED_PAD src0_sel:BYTE_1 src1_sel:DWORD
	v_ffbh_u32_e32 v7, v4
	v_min_u32_e32 v7, 32, v7
	v_lshrrev_b16_e32 v6, 11, v33
	v_subrev_u32_e32 v8, 28, v7
	v_and_b32_e32 v6, 15, v6
	v_lshlrev_b32_e32 v8, v8, v4
	v_sub_u32_e32 v7, 29, v7
	v_and_b32_e32 v8, 7, v8
	v_cmp_eq_u16_e32 vcc, 0, v6
	v_lshrrev_b16_e32 v5, 15, v33
	v_cndmask_b32_e32 v4, v4, v8, vcc
	v_cndmask_b32_e32 v6, v6, v7, vcc
	v_lshlrev_b32_e32 v4, 20, v4
	v_lshlrev_b32_e32 v5, 31, v5
	v_lshl_add_u32 v6, v6, 23, v126
	v_or3_b32 v67, v5, v6, v4
.LBB4_210:                              ;   in Loop: Header=BB4_62 Depth=1
	s_or_b64 exec, exec, s[6:7]
	v_and_b32_sdwa v4, v33, s23 dst_sel:DWORD dst_unused:UNUSED_PAD src0_sel:WORD_1 src1_sel:DWORD
	v_cmp_lt_i16_e32 vcc, s24, v4
	s_mov_b64 s[4:5], 0
                                        ; implicit-def: $sgpr10
	s_and_saveexec_b64 s[6:7], vcc
	s_xor_b64 s[6:7], exec, s[6:7]
	s_cbranch_execnz .LBB4_1233
; %bb.211:                              ;   in Loop: Header=BB4_62 Depth=1
	s_or_saveexec_b64 s[6:7], s[6:7]
	v_mov_b32_e32 v68, s10
	s_xor_b64 exec, exec, s[6:7]
	s_cbranch_execnz .LBB4_1236
.LBB4_212:                              ;   in Loop: Header=BB4_62 Depth=1
	s_or_b64 exec, exec, s[6:7]
	s_and_saveexec_b64 s[6:7], s[4:5]
	s_cbranch_execz .LBB4_214
.LBB4_213:                              ;   in Loop: Header=BB4_62 Depth=1
	v_and_b32_sdwa v4, v33, v116 dst_sel:DWORD dst_unused:UNUSED_PAD src0_sel:WORD_1 src1_sel:DWORD
	v_ffbh_u32_e32 v7, v4
	v_min_u32_e32 v7, 32, v7
	v_lshrrev_b16_sdwa v6, v117, v33 dst_sel:DWORD dst_unused:UNUSED_PAD src0_sel:DWORD src1_sel:WORD_1
	v_subrev_u32_e32 v8, 28, v7
	v_and_b32_e32 v6, 15, v6
	v_lshlrev_b32_e32 v8, v8, v4
	v_sub_u32_e32 v7, 29, v7
	v_and_b32_e32 v8, 7, v8
	v_cmp_eq_u16_e32 vcc, 0, v6
	v_lshrrev_b16_sdwa v5, v116, v33 dst_sel:DWORD dst_unused:UNUSED_PAD src0_sel:DWORD src1_sel:WORD_1
	v_cndmask_b32_e32 v4, v4, v8, vcc
	v_cndmask_b32_e32 v6, v6, v7, vcc
	v_lshlrev_b32_e32 v4, 20, v4
	v_lshlrev_b32_e32 v5, 31, v5
	v_lshl_add_u32 v6, v6, 23, v126
	v_or3_b32 v68, v5, v6, v4
.LBB4_214:                              ;   in Loop: Header=BB4_62 Depth=1
	s_or_b64 exec, exec, s[6:7]
	v_lshrrev_b16_sdwa v4, v124, v33 dst_sel:DWORD dst_unused:UNUSED_PAD src0_sel:DWORD src1_sel:WORD_1
	v_cmp_lt_i16_e32 vcc, s24, v4
	s_mov_b64 s[4:5], 0
                                        ; implicit-def: $sgpr10
	s_and_saveexec_b64 s[6:7], vcc
	s_xor_b64 s[6:7], exec, s[6:7]
	s_cbranch_execnz .LBB4_1237
; %bb.215:                              ;   in Loop: Header=BB4_62 Depth=1
	s_or_saveexec_b64 s[6:7], s[6:7]
	v_mov_b32_e32 v69, s10
	s_xor_b64 exec, exec, s[6:7]
	s_cbranch_execnz .LBB4_1240
.LBB4_216:                              ;   in Loop: Header=BB4_62 Depth=1
	s_or_b64 exec, exec, s[6:7]
	s_and_saveexec_b64 s[6:7], s[4:5]
	s_cbranch_execz .LBB4_218
.LBB4_217:                              ;   in Loop: Header=BB4_62 Depth=1
	v_and_b32_e32 v4, 7, v4
	v_ffbh_u32_e32 v7, v4
	v_min_u32_e32 v7, 32, v7
	v_lshrrev_b16_sdwa v6, v60, v33 dst_sel:DWORD dst_unused:UNUSED_PAD src0_sel:DWORD src1_sel:WORD_1
	v_subrev_u32_e32 v8, 28, v7
	v_and_b32_e32 v6, 15, v6
	v_lshlrev_b32_e32 v8, v8, v4
	v_sub_u32_e32 v7, 29, v7
	v_and_b32_e32 v8, 7, v8
	v_cmp_eq_u16_e32 vcc, 0, v6
	v_lshrrev_b16_sdwa v5, v44, v33 dst_sel:DWORD dst_unused:UNUSED_PAD src0_sel:DWORD src1_sel:WORD_1
	v_cndmask_b32_e32 v4, v4, v8, vcc
	v_cndmask_b32_e32 v6, v6, v7, vcc
	v_lshlrev_b32_e32 v4, 20, v4
	v_lshlrev_b32_e32 v5, 31, v5
	v_lshl_add_u32 v6, v6, 23, v126
	v_or3_b32 v69, v5, v6, v4
.LBB4_218:                              ;   in Loop: Header=BB4_62 Depth=1
	s_or_b64 exec, exec, s[6:7]
	v_cmp_gt_i16_sdwa s[6:7], v34, s24 src0_sel:BYTE_0 src1_sel:DWORD
	s_mov_b64 s[4:5], 0
                                        ; implicit-def: $sgpr10
	s_and_saveexec_b64 s[8:9], s[6:7]
	s_xor_b64 s[6:7], exec, s[8:9]
	s_cbranch_execnz .LBB4_1241
; %bb.219:                              ;   in Loop: Header=BB4_62 Depth=1
	s_or_saveexec_b64 s[6:7], s[6:7]
	v_mov_b32_e32 v33, s10
	s_xor_b64 exec, exec, s[6:7]
	s_cbranch_execnz .LBB4_1244
.LBB4_220:                              ;   in Loop: Header=BB4_62 Depth=1
	s_or_b64 exec, exec, s[6:7]
	s_and_saveexec_b64 s[6:7], s[4:5]
	s_cbranch_execz .LBB4_222
.LBB4_221:                              ;   in Loop: Header=BB4_62 Depth=1
	v_and_b32_e32 v4, 7, v34
	v_ffbh_u32_e32 v7, v4
	v_min_u32_e32 v7, 32, v7
	v_lshrrev_b16_e32 v6, 3, v34
	v_subrev_u32_e32 v8, 28, v7
	v_and_b32_e32 v6, 15, v6
	v_lshlrev_b32_e32 v8, v8, v4
	v_sub_u32_e32 v7, 29, v7
	v_and_b32_e32 v8, 7, v8
	v_cmp_eq_u16_e32 vcc, 0, v6
	v_lshrrev_b16_e32 v5, 7, v34
	v_cndmask_b32_e32 v4, v4, v8, vcc
	v_cndmask_b32_e32 v6, v6, v7, vcc
	v_lshlrev_b32_e32 v4, 20, v4
	v_lshlrev_b32_e32 v5, 31, v5
	v_lshl_add_u32 v6, v6, 23, v126
	v_or3_b32 v33, v5, v6, v4
.LBB4_222:                              ;   in Loop: Header=BB4_62 Depth=1
	s_or_b64 exec, exec, s[6:7]
	v_cmp_gt_i16_sdwa s[6:7], v34, s24 src0_sel:BYTE_1 src1_sel:DWORD
	s_mov_b64 s[4:5], 0
                                        ; implicit-def: $sgpr10
	s_and_saveexec_b64 s[8:9], s[6:7]
	s_xor_b64 s[6:7], exec, s[8:9]
	s_cbranch_execnz .LBB4_1245
; %bb.223:                              ;   in Loop: Header=BB4_62 Depth=1
	s_or_saveexec_b64 s[6:7], s[6:7]
	v_mov_b32_e32 v70, s10
	s_xor_b64 exec, exec, s[6:7]
	s_cbranch_execnz .LBB4_1248
.LBB4_224:                              ;   in Loop: Header=BB4_62 Depth=1
	s_or_b64 exec, exec, s[6:7]
	s_and_saveexec_b64 s[6:7], s[4:5]
	s_cbranch_execz .LBB4_226
.LBB4_225:                              ;   in Loop: Header=BB4_62 Depth=1
	v_and_b32_sdwa v4, v34, v116 dst_sel:DWORD dst_unused:UNUSED_PAD src0_sel:BYTE_1 src1_sel:DWORD
	v_ffbh_u32_e32 v7, v4
	v_min_u32_e32 v7, 32, v7
	v_lshrrev_b16_e32 v6, 11, v34
	v_subrev_u32_e32 v8, 28, v7
	v_and_b32_e32 v6, 15, v6
	v_lshlrev_b32_e32 v8, v8, v4
	v_sub_u32_e32 v7, 29, v7
	v_and_b32_e32 v8, 7, v8
	v_cmp_eq_u16_e32 vcc, 0, v6
	v_lshrrev_b16_e32 v5, 15, v34
	v_cndmask_b32_e32 v4, v4, v8, vcc
	v_cndmask_b32_e32 v6, v6, v7, vcc
	v_lshlrev_b32_e32 v4, 20, v4
	v_lshlrev_b32_e32 v5, 31, v5
	v_lshl_add_u32 v6, v6, 23, v126
	v_or3_b32 v70, v5, v6, v4
.LBB4_226:                              ;   in Loop: Header=BB4_62 Depth=1
	s_or_b64 exec, exec, s[6:7]
	v_and_b32_sdwa v4, v34, s23 dst_sel:DWORD dst_unused:UNUSED_PAD src0_sel:WORD_1 src1_sel:DWORD
	v_cmp_lt_i16_e32 vcc, s24, v4
	s_mov_b64 s[4:5], 0
                                        ; implicit-def: $sgpr10
	s_and_saveexec_b64 s[6:7], vcc
	s_xor_b64 s[6:7], exec, s[6:7]
	s_cbranch_execnz .LBB4_1249
; %bb.227:                              ;   in Loop: Header=BB4_62 Depth=1
	s_or_saveexec_b64 s[6:7], s[6:7]
	v_mov_b32_e32 v71, s10
	s_xor_b64 exec, exec, s[6:7]
	s_cbranch_execnz .LBB4_1252
.LBB4_228:                              ;   in Loop: Header=BB4_62 Depth=1
	s_or_b64 exec, exec, s[6:7]
	s_and_saveexec_b64 s[6:7], s[4:5]
	s_cbranch_execz .LBB4_230
.LBB4_229:                              ;   in Loop: Header=BB4_62 Depth=1
	v_and_b32_sdwa v4, v34, v116 dst_sel:DWORD dst_unused:UNUSED_PAD src0_sel:WORD_1 src1_sel:DWORD
	v_ffbh_u32_e32 v7, v4
	v_min_u32_e32 v7, 32, v7
	v_lshrrev_b16_sdwa v6, v117, v34 dst_sel:DWORD dst_unused:UNUSED_PAD src0_sel:DWORD src1_sel:WORD_1
	v_subrev_u32_e32 v8, 28, v7
	v_and_b32_e32 v6, 15, v6
	v_lshlrev_b32_e32 v8, v8, v4
	v_sub_u32_e32 v7, 29, v7
	v_and_b32_e32 v8, 7, v8
	v_cmp_eq_u16_e32 vcc, 0, v6
	v_lshrrev_b16_sdwa v5, v116, v34 dst_sel:DWORD dst_unused:UNUSED_PAD src0_sel:DWORD src1_sel:WORD_1
	v_cndmask_b32_e32 v4, v4, v8, vcc
	v_cndmask_b32_e32 v6, v6, v7, vcc
	v_lshlrev_b32_e32 v4, 20, v4
	v_lshlrev_b32_e32 v5, 31, v5
	v_lshl_add_u32 v6, v6, 23, v126
	v_or3_b32 v71, v5, v6, v4
.LBB4_230:                              ;   in Loop: Header=BB4_62 Depth=1
	s_or_b64 exec, exec, s[6:7]
	v_lshrrev_b16_sdwa v5, v124, v34 dst_sel:DWORD dst_unused:UNUSED_PAD src0_sel:DWORD src1_sel:WORD_1
	v_cmp_lt_i16_e32 vcc, s24, v5
	s_mov_b64 s[4:5], 0
                                        ; implicit-def: $sgpr10
	s_and_saveexec_b64 s[6:7], vcc
	s_xor_b64 s[6:7], exec, s[6:7]
	s_cbranch_execnz .LBB4_1253
; %bb.231:                              ;   in Loop: Header=BB4_62 Depth=1
	s_or_saveexec_b64 s[6:7], s[6:7]
	v_mov_b32_e32 v4, s10
	s_xor_b64 exec, exec, s[6:7]
	s_cbranch_execnz .LBB4_1256
.LBB4_232:                              ;   in Loop: Header=BB4_62 Depth=1
	s_or_b64 exec, exec, s[6:7]
	s_and_saveexec_b64 s[6:7], s[4:5]
	s_cbranch_execz .LBB4_234
.LBB4_233:                              ;   in Loop: Header=BB4_62 Depth=1
	v_and_b32_e32 v4, 7, v5
	v_ffbh_u32_e32 v7, v4
	v_min_u32_e32 v7, 32, v7
	v_lshrrev_b16_sdwa v6, v60, v34 dst_sel:DWORD dst_unused:UNUSED_PAD src0_sel:DWORD src1_sel:WORD_1
	v_subrev_u32_e32 v8, 28, v7
	v_and_b32_e32 v6, 15, v6
	v_lshlrev_b32_e32 v8, v8, v4
	v_sub_u32_e32 v7, 29, v7
	v_and_b32_e32 v8, 7, v8
	v_cmp_eq_u16_e32 vcc, 0, v6
	v_lshrrev_b16_sdwa v5, v44, v34 dst_sel:DWORD dst_unused:UNUSED_PAD src0_sel:DWORD src1_sel:WORD_1
	v_cndmask_b32_e32 v4, v4, v8, vcc
	v_cndmask_b32_e32 v6, v6, v7, vcc
	v_lshlrev_b32_e32 v4, 20, v4
	v_lshlrev_b32_e32 v5, 31, v5
	v_lshl_add_u32 v6, v6, 23, v126
	v_or3_b32 v4, v5, v6, v4
.LBB4_234:                              ;   in Loop: Header=BB4_62 Depth=1
	s_or_b64 exec, exec, s[6:7]
	v_cmp_gt_i16_sdwa s[6:7], v35, s24 src0_sel:BYTE_0 src1_sel:DWORD
	s_mov_b64 s[4:5], 0
                                        ; implicit-def: $sgpr10
	s_and_saveexec_b64 s[8:9], s[6:7]
	s_xor_b64 s[6:7], exec, s[8:9]
	s_cbranch_execnz .LBB4_1257
; %bb.235:                              ;   in Loop: Header=BB4_62 Depth=1
	s_or_saveexec_b64 s[6:7], s[6:7]
	v_mov_b32_e32 v5, s10
	s_xor_b64 exec, exec, s[6:7]
	s_cbranch_execnz .LBB4_1260
.LBB4_236:                              ;   in Loop: Header=BB4_62 Depth=1
	s_or_b64 exec, exec, s[6:7]
	s_and_saveexec_b64 s[6:7], s[4:5]
	s_cbranch_execz .LBB4_238
.LBB4_237:                              ;   in Loop: Header=BB4_62 Depth=1
	v_and_b32_e32 v5, 7, v35
	v_ffbh_u32_e32 v8, v5
	v_min_u32_e32 v8, 32, v8
	v_lshrrev_b16_e32 v7, 3, v35
	v_subrev_u32_e32 v9, 28, v8
	v_and_b32_e32 v7, 15, v7
	v_lshlrev_b32_e32 v9, v9, v5
	v_sub_u32_e32 v8, 29, v8
	v_and_b32_e32 v9, 7, v9
	v_cmp_eq_u16_e32 vcc, 0, v7
	v_lshrrev_b16_e32 v6, 7, v35
	v_cndmask_b32_e32 v5, v5, v9, vcc
	v_cndmask_b32_e32 v7, v7, v8, vcc
	v_lshlrev_b32_e32 v5, 20, v5
	v_lshlrev_b32_e32 v6, 31, v6
	v_lshl_add_u32 v7, v7, 23, v126
	v_or3_b32 v5, v6, v7, v5
.LBB4_238:                              ;   in Loop: Header=BB4_62 Depth=1
	s_or_b64 exec, exec, s[6:7]
	v_cmp_gt_i16_sdwa s[6:7], v35, s24 src0_sel:BYTE_1 src1_sel:DWORD
	s_mov_b64 s[4:5], 0
                                        ; implicit-def: $sgpr10
	s_and_saveexec_b64 s[8:9], s[6:7]
	s_xor_b64 s[6:7], exec, s[8:9]
	s_cbranch_execnz .LBB4_1261
; %bb.239:                              ;   in Loop: Header=BB4_62 Depth=1
	s_or_saveexec_b64 s[6:7], s[6:7]
	v_mov_b32_e32 v6, s10
	s_xor_b64 exec, exec, s[6:7]
	s_cbranch_execnz .LBB4_1264
.LBB4_240:                              ;   in Loop: Header=BB4_62 Depth=1
	s_or_b64 exec, exec, s[6:7]
	s_and_saveexec_b64 s[6:7], s[4:5]
	s_cbranch_execz .LBB4_242
.LBB4_241:                              ;   in Loop: Header=BB4_62 Depth=1
	v_and_b32_sdwa v6, v35, v116 dst_sel:DWORD dst_unused:UNUSED_PAD src0_sel:BYTE_1 src1_sel:DWORD
	v_ffbh_u32_e32 v9, v6
	v_min_u32_e32 v9, 32, v9
	v_lshrrev_b16_e32 v8, 11, v35
	v_subrev_u32_e32 v10, 28, v9
	v_and_b32_e32 v8, 15, v8
	v_lshlrev_b32_e32 v10, v10, v6
	v_sub_u32_e32 v9, 29, v9
	v_and_b32_e32 v10, 7, v10
	v_cmp_eq_u16_e32 vcc, 0, v8
	v_lshrrev_b16_e32 v7, 15, v35
	v_cndmask_b32_e32 v6, v6, v10, vcc
	v_cndmask_b32_e32 v8, v8, v9, vcc
	v_lshlrev_b32_e32 v6, 20, v6
	v_lshlrev_b32_e32 v7, 31, v7
	v_lshl_add_u32 v8, v8, 23, v126
	v_or3_b32 v6, v7, v8, v6
.LBB4_242:                              ;   in Loop: Header=BB4_62 Depth=1
	s_or_b64 exec, exec, s[6:7]
	v_and_b32_sdwa v8, v35, s23 dst_sel:DWORD dst_unused:UNUSED_PAD src0_sel:WORD_1 src1_sel:DWORD
	v_cmp_lt_i16_e32 vcc, s24, v8
	s_mov_b64 s[4:5], 0
                                        ; implicit-def: $sgpr10
	s_and_saveexec_b64 s[6:7], vcc
	s_xor_b64 s[6:7], exec, s[6:7]
	s_cbranch_execnz .LBB4_1265
; %bb.243:                              ;   in Loop: Header=BB4_62 Depth=1
	s_or_saveexec_b64 s[6:7], s[6:7]
	v_mov_b32_e32 v7, s10
	s_xor_b64 exec, exec, s[6:7]
	s_cbranch_execnz .LBB4_1268
.LBB4_244:                              ;   in Loop: Header=BB4_62 Depth=1
	s_or_b64 exec, exec, s[6:7]
	s_and_saveexec_b64 s[6:7], s[4:5]
	s_cbranch_execz .LBB4_246
.LBB4_245:                              ;   in Loop: Header=BB4_62 Depth=1
	v_and_b32_sdwa v7, v35, v116 dst_sel:DWORD dst_unused:UNUSED_PAD src0_sel:WORD_1 src1_sel:DWORD
	v_ffbh_u32_e32 v10, v7
	v_min_u32_e32 v10, 32, v10
	v_lshrrev_b16_sdwa v9, v117, v35 dst_sel:DWORD dst_unused:UNUSED_PAD src0_sel:DWORD src1_sel:WORD_1
	v_subrev_u32_e32 v11, 28, v10
	v_and_b32_e32 v9, 15, v9
	v_lshlrev_b32_e32 v11, v11, v7
	v_sub_u32_e32 v10, 29, v10
	v_and_b32_e32 v11, 7, v11
	v_cmp_eq_u16_e32 vcc, 0, v9
	v_lshrrev_b16_sdwa v8, v116, v35 dst_sel:DWORD dst_unused:UNUSED_PAD src0_sel:DWORD src1_sel:WORD_1
	v_cndmask_b32_e32 v7, v7, v11, vcc
	v_cndmask_b32_e32 v9, v9, v10, vcc
	v_lshlrev_b32_e32 v7, 20, v7
	v_lshlrev_b32_e32 v8, 31, v8
	v_lshl_add_u32 v9, v9, 23, v126
	v_or3_b32 v7, v8, v9, v7
.LBB4_246:                              ;   in Loop: Header=BB4_62 Depth=1
	s_or_b64 exec, exec, s[6:7]
	v_lshrrev_b16_sdwa v34, v124, v35 dst_sel:DWORD dst_unused:UNUSED_PAD src0_sel:DWORD src1_sel:WORD_1
	v_cmp_lt_i16_e32 vcc, s24, v34
	s_mov_b64 s[4:5], 0
                                        ; implicit-def: $sgpr10
	s_and_saveexec_b64 s[6:7], vcc
	s_xor_b64 s[6:7], exec, s[6:7]
	s_cbranch_execnz .LBB4_1269
; %bb.247:                              ;   in Loop: Header=BB4_62 Depth=1
	s_or_saveexec_b64 s[6:7], s[6:7]
	v_mov_b32_e32 v80, s10
	s_xor_b64 exec, exec, s[6:7]
	s_cbranch_execnz .LBB4_1272
.LBB4_248:                              ;   in Loop: Header=BB4_62 Depth=1
	s_or_b64 exec, exec, s[6:7]
	s_and_saveexec_b64 s[6:7], s[4:5]
	s_cbranch_execz .LBB4_250
.LBB4_249:                              ;   in Loop: Header=BB4_62 Depth=1
	v_and_b32_e32 v8, 7, v34
	v_ffbh_u32_e32 v11, v8
	v_min_u32_e32 v11, 32, v11
	v_lshrrev_b16_sdwa v10, v60, v35 dst_sel:DWORD dst_unused:UNUSED_PAD src0_sel:DWORD src1_sel:WORD_1
	v_subrev_u32_e32 v34, 28, v11
	v_and_b32_e32 v10, 15, v10
	v_lshlrev_b32_e32 v34, v34, v8
	v_sub_u32_e32 v11, 29, v11
	v_and_b32_e32 v34, 7, v34
	v_cmp_eq_u16_e32 vcc, 0, v10
	v_lshrrev_b16_sdwa v9, v44, v35 dst_sel:DWORD dst_unused:UNUSED_PAD src0_sel:DWORD src1_sel:WORD_1
	v_cndmask_b32_e32 v8, v8, v34, vcc
	v_cndmask_b32_e32 v10, v10, v11, vcc
	v_lshlrev_b32_e32 v8, 20, v8
	v_lshlrev_b32_e32 v9, 31, v9
	v_lshl_add_u32 v10, v10, 23, v126
	v_or3_b32 v80, v9, v10, v8
.LBB4_250:                              ;   in Loop: Header=BB4_62 Depth=1
	s_or_b64 exec, exec, s[6:7]
	v_cvt_pkrtz_f16_f32 v2, v2, v3
	v_cvt_pkrtz_f16_f32 v3, v64, v66
	;; [unrolled: 1-line block ×8, first 2 shown]
	buffer_store_dword v3, off, s[0:3], s33 offset:36
	buffer_store_dword v2, off, s[0:3], s33 offset:32
	;; [unrolled: 1-line block ×8, first 2 shown]
	v_add_u32_e32 v2, 32, v49
	v_ashrrev_i32_e32 v3, 31, v2
	v_lshrrev_b32_e32 v3, 28, v3
	v_add_u32_e32 v4, v2, v3
	v_ashrrev_i32_e32 v3, 4, v4
	v_and_b32_e32 v4, -16, v4
	v_sub_u32_e32 v2, v2, v4
	v_add_u32_e32 v4, v3, v52
	v_xor_b32_e32 v4, v4, v65
	v_sub_u32_e32 v4, v4, v38
	v_lshlrev_b32_e32 v4, 4, v4
	v_add3_u32 v4, v2, v53, v4
	v_ashrrev_i32_e32 v5, 31, v4
	v_add_co_u32_e32 v4, vcc, v36, v4
	v_addc_co_u32_e32 v5, vcc, v37, v5, vcc
	flat_load_dwordx4 v[32:35], v[4:5]
	s_mov_b64 s[4:5], 0
                                        ; implicit-def: $sgpr10
	s_waitcnt vmcnt(0) lgkmcnt(0)
	v_cmp_gt_i16_sdwa s[6:7], v32, s24 src0_sel:BYTE_0 src1_sel:DWORD
	s_and_saveexec_b64 s[8:9], s[6:7]
	s_xor_b64 s[6:7], exec, s[8:9]
	s_cbranch_execnz .LBB4_1273
; %bb.251:                              ;   in Loop: Header=BB4_62 Depth=1
	s_or_saveexec_b64 s[6:7], s[6:7]
	v_mov_b32_e32 v64, s10
	s_xor_b64 exec, exec, s[6:7]
	s_cbranch_execnz .LBB4_1276
.LBB4_252:                              ;   in Loop: Header=BB4_62 Depth=1
	s_or_b64 exec, exec, s[6:7]
	s_and_saveexec_b64 s[6:7], s[4:5]
	s_cbranch_execz .LBB4_254
.LBB4_253:                              ;   in Loop: Header=BB4_62 Depth=1
	v_and_b32_e32 v4, 7, v32
	v_ffbh_u32_e32 v7, v4
	v_min_u32_e32 v7, 32, v7
	v_lshrrev_b16_e32 v6, 3, v32
	v_subrev_u32_e32 v8, 28, v7
	v_and_b32_e32 v6, 15, v6
	v_lshlrev_b32_e32 v8, v8, v4
	v_sub_u32_e32 v7, 29, v7
	v_and_b32_e32 v8, 7, v8
	v_cmp_eq_u16_e32 vcc, 0, v6
	v_lshrrev_b16_e32 v5, 7, v32
	v_cndmask_b32_e32 v4, v4, v8, vcc
	v_cndmask_b32_e32 v6, v6, v7, vcc
	v_lshlrev_b32_e32 v4, 20, v4
	v_lshlrev_b32_e32 v5, 31, v5
	v_lshl_add_u32 v6, v6, 23, v126
	v_or3_b32 v64, v5, v6, v4
.LBB4_254:                              ;   in Loop: Header=BB4_62 Depth=1
	s_or_b64 exec, exec, s[6:7]
	v_cmp_gt_i16_sdwa s[6:7], v32, s24 src0_sel:BYTE_1 src1_sel:DWORD
	s_mov_b64 s[4:5], 0
                                        ; implicit-def: $sgpr10
	s_and_saveexec_b64 s[8:9], s[6:7]
	s_xor_b64 s[6:7], exec, s[8:9]
	s_cbranch_execnz .LBB4_1277
; %bb.255:                              ;   in Loop: Header=BB4_62 Depth=1
	s_or_saveexec_b64 s[6:7], s[6:7]
	v_mov_b32_e32 v66, s10
	s_xor_b64 exec, exec, s[6:7]
	s_cbranch_execnz .LBB4_1280
.LBB4_256:                              ;   in Loop: Header=BB4_62 Depth=1
	s_or_b64 exec, exec, s[6:7]
	s_and_saveexec_b64 s[6:7], s[4:5]
	s_cbranch_execz .LBB4_258
.LBB4_257:                              ;   in Loop: Header=BB4_62 Depth=1
	v_and_b32_sdwa v4, v32, v116 dst_sel:DWORD dst_unused:UNUSED_PAD src0_sel:BYTE_1 src1_sel:DWORD
	v_ffbh_u32_e32 v7, v4
	v_min_u32_e32 v7, 32, v7
	v_lshrrev_b16_e32 v6, 11, v32
	v_subrev_u32_e32 v8, 28, v7
	v_and_b32_e32 v6, 15, v6
	v_lshlrev_b32_e32 v8, v8, v4
	v_sub_u32_e32 v7, 29, v7
	v_and_b32_e32 v8, 7, v8
	v_cmp_eq_u16_e32 vcc, 0, v6
	v_lshrrev_b16_e32 v5, 15, v32
	v_cndmask_b32_e32 v4, v4, v8, vcc
	v_cndmask_b32_e32 v6, v6, v7, vcc
	v_lshlrev_b32_e32 v4, 20, v4
	v_lshlrev_b32_e32 v5, 31, v5
	v_lshl_add_u32 v6, v6, 23, v126
	v_or3_b32 v66, v5, v6, v4
.LBB4_258:                              ;   in Loop: Header=BB4_62 Depth=1
	s_or_b64 exec, exec, s[6:7]
	v_and_b32_sdwa v4, v32, s23 dst_sel:DWORD dst_unused:UNUSED_PAD src0_sel:WORD_1 src1_sel:DWORD
	v_cmp_lt_i16_e32 vcc, s24, v4
	s_mov_b64 s[4:5], 0
                                        ; implicit-def: $sgpr10
	s_and_saveexec_b64 s[6:7], vcc
	s_xor_b64 s[6:7], exec, s[6:7]
	s_cbranch_execnz .LBB4_1281
; %bb.259:                              ;   in Loop: Header=BB4_62 Depth=1
	s_or_saveexec_b64 s[6:7], s[6:7]
	v_mov_b32_e32 v67, s10
	s_xor_b64 exec, exec, s[6:7]
	s_cbranch_execnz .LBB4_1284
.LBB4_260:                              ;   in Loop: Header=BB4_62 Depth=1
	s_or_b64 exec, exec, s[6:7]
	s_and_saveexec_b64 s[6:7], s[4:5]
	s_cbranch_execz .LBB4_262
.LBB4_261:                              ;   in Loop: Header=BB4_62 Depth=1
	v_and_b32_sdwa v4, v32, v116 dst_sel:DWORD dst_unused:UNUSED_PAD src0_sel:WORD_1 src1_sel:DWORD
	v_ffbh_u32_e32 v7, v4
	v_min_u32_e32 v7, 32, v7
	v_lshrrev_b16_sdwa v6, v117, v32 dst_sel:DWORD dst_unused:UNUSED_PAD src0_sel:DWORD src1_sel:WORD_1
	v_subrev_u32_e32 v8, 28, v7
	v_and_b32_e32 v6, 15, v6
	v_lshlrev_b32_e32 v8, v8, v4
	v_sub_u32_e32 v7, 29, v7
	v_and_b32_e32 v8, 7, v8
	v_cmp_eq_u16_e32 vcc, 0, v6
	v_lshrrev_b16_sdwa v5, v116, v32 dst_sel:DWORD dst_unused:UNUSED_PAD src0_sel:DWORD src1_sel:WORD_1
	v_cndmask_b32_e32 v4, v4, v8, vcc
	v_cndmask_b32_e32 v6, v6, v7, vcc
	v_lshlrev_b32_e32 v4, 20, v4
	v_lshlrev_b32_e32 v5, 31, v5
	v_lshl_add_u32 v6, v6, 23, v126
	v_or3_b32 v67, v5, v6, v4
.LBB4_262:                              ;   in Loop: Header=BB4_62 Depth=1
	s_or_b64 exec, exec, s[6:7]
	v_lshrrev_b16_sdwa v4, v124, v32 dst_sel:DWORD dst_unused:UNUSED_PAD src0_sel:DWORD src1_sel:WORD_1
	v_cmp_lt_i16_e32 vcc, s24, v4
	s_mov_b64 s[4:5], 0
                                        ; implicit-def: $sgpr10
	s_and_saveexec_b64 s[6:7], vcc
	s_xor_b64 s[6:7], exec, s[6:7]
	s_cbranch_execnz .LBB4_1285
; %bb.263:                              ;   in Loop: Header=BB4_62 Depth=1
	s_or_saveexec_b64 s[6:7], s[6:7]
	v_mov_b32_e32 v68, s10
	s_xor_b64 exec, exec, s[6:7]
	s_cbranch_execnz .LBB4_1288
.LBB4_264:                              ;   in Loop: Header=BB4_62 Depth=1
	s_or_b64 exec, exec, s[6:7]
	s_and_saveexec_b64 s[6:7], s[4:5]
	s_cbranch_execz .LBB4_266
.LBB4_265:                              ;   in Loop: Header=BB4_62 Depth=1
	v_and_b32_e32 v4, 7, v4
	v_ffbh_u32_e32 v7, v4
	v_min_u32_e32 v7, 32, v7
	v_lshrrev_b16_sdwa v6, v60, v32 dst_sel:DWORD dst_unused:UNUSED_PAD src0_sel:DWORD src1_sel:WORD_1
	v_subrev_u32_e32 v8, 28, v7
	v_and_b32_e32 v6, 15, v6
	v_lshlrev_b32_e32 v8, v8, v4
	v_sub_u32_e32 v7, 29, v7
	v_and_b32_e32 v8, 7, v8
	v_cmp_eq_u16_e32 vcc, 0, v6
	v_lshrrev_b16_sdwa v5, v44, v32 dst_sel:DWORD dst_unused:UNUSED_PAD src0_sel:DWORD src1_sel:WORD_1
	v_cndmask_b32_e32 v4, v4, v8, vcc
	v_cndmask_b32_e32 v6, v6, v7, vcc
	v_lshlrev_b32_e32 v4, 20, v4
	v_lshlrev_b32_e32 v5, 31, v5
	v_lshl_add_u32 v6, v6, 23, v126
	v_or3_b32 v68, v5, v6, v4
.LBB4_266:                              ;   in Loop: Header=BB4_62 Depth=1
	s_or_b64 exec, exec, s[6:7]
	v_cmp_gt_i16_sdwa s[6:7], v33, s24 src0_sel:BYTE_0 src1_sel:DWORD
	s_mov_b64 s[4:5], 0
                                        ; implicit-def: $sgpr10
	s_and_saveexec_b64 s[8:9], s[6:7]
	s_xor_b64 s[6:7], exec, s[8:9]
	s_cbranch_execnz .LBB4_1289
; %bb.267:                              ;   in Loop: Header=BB4_62 Depth=1
	s_or_saveexec_b64 s[6:7], s[6:7]
	v_mov_b32_e32 v32, s10
	s_xor_b64 exec, exec, s[6:7]
	s_cbranch_execnz .LBB4_1292
.LBB4_268:                              ;   in Loop: Header=BB4_62 Depth=1
	s_or_b64 exec, exec, s[6:7]
	s_and_saveexec_b64 s[6:7], s[4:5]
	s_cbranch_execz .LBB4_270
.LBB4_269:                              ;   in Loop: Header=BB4_62 Depth=1
	v_and_b32_e32 v4, 7, v33
	v_ffbh_u32_e32 v7, v4
	v_min_u32_e32 v7, 32, v7
	v_lshrrev_b16_e32 v6, 3, v33
	v_subrev_u32_e32 v8, 28, v7
	v_and_b32_e32 v6, 15, v6
	v_lshlrev_b32_e32 v8, v8, v4
	v_sub_u32_e32 v7, 29, v7
	v_and_b32_e32 v8, 7, v8
	v_cmp_eq_u16_e32 vcc, 0, v6
	v_lshrrev_b16_e32 v5, 7, v33
	v_cndmask_b32_e32 v4, v4, v8, vcc
	v_cndmask_b32_e32 v6, v6, v7, vcc
	v_lshlrev_b32_e32 v4, 20, v4
	v_lshlrev_b32_e32 v5, 31, v5
	v_lshl_add_u32 v6, v6, 23, v126
	v_or3_b32 v32, v5, v6, v4
.LBB4_270:                              ;   in Loop: Header=BB4_62 Depth=1
	s_or_b64 exec, exec, s[6:7]
	v_cmp_gt_i16_sdwa s[6:7], v33, s24 src0_sel:BYTE_1 src1_sel:DWORD
	s_mov_b64 s[4:5], 0
                                        ; implicit-def: $sgpr10
	s_and_saveexec_b64 s[8:9], s[6:7]
	s_xor_b64 s[6:7], exec, s[8:9]
	s_cbranch_execnz .LBB4_1293
; %bb.271:                              ;   in Loop: Header=BB4_62 Depth=1
	s_or_saveexec_b64 s[6:7], s[6:7]
	v_mov_b32_e32 v69, s10
	s_xor_b64 exec, exec, s[6:7]
	s_cbranch_execnz .LBB4_1296
.LBB4_272:                              ;   in Loop: Header=BB4_62 Depth=1
	s_or_b64 exec, exec, s[6:7]
	s_and_saveexec_b64 s[6:7], s[4:5]
	s_cbranch_execz .LBB4_274
.LBB4_273:                              ;   in Loop: Header=BB4_62 Depth=1
	v_and_b32_sdwa v4, v33, v116 dst_sel:DWORD dst_unused:UNUSED_PAD src0_sel:BYTE_1 src1_sel:DWORD
	v_ffbh_u32_e32 v7, v4
	v_min_u32_e32 v7, 32, v7
	v_lshrrev_b16_e32 v6, 11, v33
	v_subrev_u32_e32 v8, 28, v7
	v_and_b32_e32 v6, 15, v6
	v_lshlrev_b32_e32 v8, v8, v4
	v_sub_u32_e32 v7, 29, v7
	v_and_b32_e32 v8, 7, v8
	v_cmp_eq_u16_e32 vcc, 0, v6
	v_lshrrev_b16_e32 v5, 15, v33
	v_cndmask_b32_e32 v4, v4, v8, vcc
	v_cndmask_b32_e32 v6, v6, v7, vcc
	v_lshlrev_b32_e32 v4, 20, v4
	v_lshlrev_b32_e32 v5, 31, v5
	v_lshl_add_u32 v6, v6, 23, v126
	v_or3_b32 v69, v5, v6, v4
.LBB4_274:                              ;   in Loop: Header=BB4_62 Depth=1
	s_or_b64 exec, exec, s[6:7]
	v_and_b32_sdwa v4, v33, s23 dst_sel:DWORD dst_unused:UNUSED_PAD src0_sel:WORD_1 src1_sel:DWORD
	v_cmp_lt_i16_e32 vcc, s24, v4
	s_mov_b64 s[4:5], 0
                                        ; implicit-def: $sgpr10
	s_and_saveexec_b64 s[6:7], vcc
	s_xor_b64 s[6:7], exec, s[6:7]
	s_cbranch_execnz .LBB4_1297
; %bb.275:                              ;   in Loop: Header=BB4_62 Depth=1
	s_or_saveexec_b64 s[6:7], s[6:7]
	v_mov_b32_e32 v70, s10
	s_xor_b64 exec, exec, s[6:7]
	s_cbranch_execnz .LBB4_1300
.LBB4_276:                              ;   in Loop: Header=BB4_62 Depth=1
	s_or_b64 exec, exec, s[6:7]
	s_and_saveexec_b64 s[6:7], s[4:5]
	s_cbranch_execz .LBB4_278
.LBB4_277:                              ;   in Loop: Header=BB4_62 Depth=1
	v_and_b32_sdwa v4, v33, v116 dst_sel:DWORD dst_unused:UNUSED_PAD src0_sel:WORD_1 src1_sel:DWORD
	v_ffbh_u32_e32 v7, v4
	v_min_u32_e32 v7, 32, v7
	v_lshrrev_b16_sdwa v6, v117, v33 dst_sel:DWORD dst_unused:UNUSED_PAD src0_sel:DWORD src1_sel:WORD_1
	v_subrev_u32_e32 v8, 28, v7
	v_and_b32_e32 v6, 15, v6
	v_lshlrev_b32_e32 v8, v8, v4
	v_sub_u32_e32 v7, 29, v7
	v_and_b32_e32 v8, 7, v8
	v_cmp_eq_u16_e32 vcc, 0, v6
	v_lshrrev_b16_sdwa v5, v116, v33 dst_sel:DWORD dst_unused:UNUSED_PAD src0_sel:DWORD src1_sel:WORD_1
	v_cndmask_b32_e32 v4, v4, v8, vcc
	v_cndmask_b32_e32 v6, v6, v7, vcc
	v_lshlrev_b32_e32 v4, 20, v4
	v_lshlrev_b32_e32 v5, 31, v5
	v_lshl_add_u32 v6, v6, 23, v126
	v_or3_b32 v70, v5, v6, v4
.LBB4_278:                              ;   in Loop: Header=BB4_62 Depth=1
	s_or_b64 exec, exec, s[6:7]
	v_lshrrev_b16_sdwa v4, v124, v33 dst_sel:DWORD dst_unused:UNUSED_PAD src0_sel:DWORD src1_sel:WORD_1
	v_cmp_lt_i16_e32 vcc, s24, v4
	s_mov_b64 s[4:5], 0
                                        ; implicit-def: $sgpr10
	s_and_saveexec_b64 s[6:7], vcc
	s_xor_b64 s[6:7], exec, s[6:7]
	s_cbranch_execnz .LBB4_1301
; %bb.279:                              ;   in Loop: Header=BB4_62 Depth=1
	s_or_saveexec_b64 s[6:7], s[6:7]
	v_mov_b32_e32 v71, s10
	s_xor_b64 exec, exec, s[6:7]
	s_cbranch_execnz .LBB4_1304
.LBB4_280:                              ;   in Loop: Header=BB4_62 Depth=1
	s_or_b64 exec, exec, s[6:7]
	s_and_saveexec_b64 s[6:7], s[4:5]
	s_cbranch_execz .LBB4_282
.LBB4_281:                              ;   in Loop: Header=BB4_62 Depth=1
	v_and_b32_e32 v4, 7, v4
	v_ffbh_u32_e32 v7, v4
	v_min_u32_e32 v7, 32, v7
	v_lshrrev_b16_sdwa v6, v60, v33 dst_sel:DWORD dst_unused:UNUSED_PAD src0_sel:DWORD src1_sel:WORD_1
	v_subrev_u32_e32 v8, 28, v7
	v_and_b32_e32 v6, 15, v6
	v_lshlrev_b32_e32 v8, v8, v4
	v_sub_u32_e32 v7, 29, v7
	v_and_b32_e32 v8, 7, v8
	v_cmp_eq_u16_e32 vcc, 0, v6
	v_lshrrev_b16_sdwa v5, v44, v33 dst_sel:DWORD dst_unused:UNUSED_PAD src0_sel:DWORD src1_sel:WORD_1
	v_cndmask_b32_e32 v4, v4, v8, vcc
	v_cndmask_b32_e32 v6, v6, v7, vcc
	v_lshlrev_b32_e32 v4, 20, v4
	v_lshlrev_b32_e32 v5, 31, v5
	v_lshl_add_u32 v6, v6, 23, v126
	v_or3_b32 v71, v5, v6, v4
.LBB4_282:                              ;   in Loop: Header=BB4_62 Depth=1
	s_or_b64 exec, exec, s[6:7]
	v_cmp_gt_i16_sdwa s[6:7], v34, s24 src0_sel:BYTE_0 src1_sel:DWORD
	s_mov_b64 s[4:5], 0
                                        ; implicit-def: $sgpr10
	s_and_saveexec_b64 s[8:9], s[6:7]
	s_xor_b64 s[6:7], exec, s[8:9]
	s_cbranch_execnz .LBB4_1305
; %bb.283:                              ;   in Loop: Header=BB4_62 Depth=1
	s_or_saveexec_b64 s[6:7], s[6:7]
	v_mov_b32_e32 v33, s10
	s_xor_b64 exec, exec, s[6:7]
	s_cbranch_execnz .LBB4_1308
.LBB4_284:                              ;   in Loop: Header=BB4_62 Depth=1
	s_or_b64 exec, exec, s[6:7]
	s_and_saveexec_b64 s[6:7], s[4:5]
	s_cbranch_execz .LBB4_286
.LBB4_285:                              ;   in Loop: Header=BB4_62 Depth=1
	v_and_b32_e32 v4, 7, v34
	v_ffbh_u32_e32 v7, v4
	v_min_u32_e32 v7, 32, v7
	v_lshrrev_b16_e32 v6, 3, v34
	v_subrev_u32_e32 v8, 28, v7
	v_and_b32_e32 v6, 15, v6
	v_lshlrev_b32_e32 v8, v8, v4
	v_sub_u32_e32 v7, 29, v7
	v_and_b32_e32 v8, 7, v8
	v_cmp_eq_u16_e32 vcc, 0, v6
	v_lshrrev_b16_e32 v5, 7, v34
	v_cndmask_b32_e32 v4, v4, v8, vcc
	v_cndmask_b32_e32 v6, v6, v7, vcc
	v_lshlrev_b32_e32 v4, 20, v4
	v_lshlrev_b32_e32 v5, 31, v5
	v_lshl_add_u32 v6, v6, 23, v126
	v_or3_b32 v33, v5, v6, v4
.LBB4_286:                              ;   in Loop: Header=BB4_62 Depth=1
	s_or_b64 exec, exec, s[6:7]
	v_cmp_gt_i16_sdwa s[6:7], v34, s24 src0_sel:BYTE_1 src1_sel:DWORD
	s_mov_b64 s[4:5], 0
                                        ; implicit-def: $sgpr10
	s_and_saveexec_b64 s[8:9], s[6:7]
	s_xor_b64 s[6:7], exec, s[8:9]
	s_cbranch_execnz .LBB4_1309
; %bb.287:                              ;   in Loop: Header=BB4_62 Depth=1
	s_or_saveexec_b64 s[6:7], s[6:7]
	v_mov_b32_e32 v80, s10
	s_xor_b64 exec, exec, s[6:7]
	s_cbranch_execnz .LBB4_1312
.LBB4_288:                              ;   in Loop: Header=BB4_62 Depth=1
	s_or_b64 exec, exec, s[6:7]
	s_and_saveexec_b64 s[6:7], s[4:5]
	s_cbranch_execz .LBB4_290
.LBB4_289:                              ;   in Loop: Header=BB4_62 Depth=1
	v_and_b32_sdwa v4, v34, v116 dst_sel:DWORD dst_unused:UNUSED_PAD src0_sel:BYTE_1 src1_sel:DWORD
	v_ffbh_u32_e32 v7, v4
	v_min_u32_e32 v7, 32, v7
	v_lshrrev_b16_e32 v6, 11, v34
	v_subrev_u32_e32 v8, 28, v7
	v_and_b32_e32 v6, 15, v6
	v_lshlrev_b32_e32 v8, v8, v4
	v_sub_u32_e32 v7, 29, v7
	v_and_b32_e32 v8, 7, v8
	v_cmp_eq_u16_e32 vcc, 0, v6
	v_lshrrev_b16_e32 v5, 15, v34
	v_cndmask_b32_e32 v4, v4, v8, vcc
	v_cndmask_b32_e32 v6, v6, v7, vcc
	v_lshlrev_b32_e32 v4, 20, v4
	v_lshlrev_b32_e32 v5, 31, v5
	v_lshl_add_u32 v6, v6, 23, v126
	v_or3_b32 v80, v5, v6, v4
.LBB4_290:                              ;   in Loop: Header=BB4_62 Depth=1
	s_or_b64 exec, exec, s[6:7]
	v_and_b32_sdwa v4, v34, s23 dst_sel:DWORD dst_unused:UNUSED_PAD src0_sel:WORD_1 src1_sel:DWORD
	v_cmp_lt_i16_e32 vcc, s24, v4
	s_mov_b64 s[4:5], 0
                                        ; implicit-def: $sgpr10
	s_and_saveexec_b64 s[6:7], vcc
	s_xor_b64 s[6:7], exec, s[6:7]
	s_cbranch_execnz .LBB4_1313
; %bb.291:                              ;   in Loop: Header=BB4_62 Depth=1
	s_or_saveexec_b64 s[6:7], s[6:7]
	v_mov_b32_e32 v81, s10
	s_xor_b64 exec, exec, s[6:7]
	s_cbranch_execnz .LBB4_1316
.LBB4_292:                              ;   in Loop: Header=BB4_62 Depth=1
	s_or_b64 exec, exec, s[6:7]
	s_and_saveexec_b64 s[6:7], s[4:5]
	s_cbranch_execz .LBB4_294
.LBB4_293:                              ;   in Loop: Header=BB4_62 Depth=1
	v_and_b32_sdwa v4, v34, v116 dst_sel:DWORD dst_unused:UNUSED_PAD src0_sel:WORD_1 src1_sel:DWORD
	v_ffbh_u32_e32 v7, v4
	v_min_u32_e32 v7, 32, v7
	v_lshrrev_b16_sdwa v6, v117, v34 dst_sel:DWORD dst_unused:UNUSED_PAD src0_sel:DWORD src1_sel:WORD_1
	v_subrev_u32_e32 v8, 28, v7
	v_and_b32_e32 v6, 15, v6
	v_lshlrev_b32_e32 v8, v8, v4
	v_sub_u32_e32 v7, 29, v7
	v_and_b32_e32 v8, 7, v8
	v_cmp_eq_u16_e32 vcc, 0, v6
	v_lshrrev_b16_sdwa v5, v116, v34 dst_sel:DWORD dst_unused:UNUSED_PAD src0_sel:DWORD src1_sel:WORD_1
	v_cndmask_b32_e32 v4, v4, v8, vcc
	v_cndmask_b32_e32 v6, v6, v7, vcc
	v_lshlrev_b32_e32 v4, 20, v4
	v_lshlrev_b32_e32 v5, 31, v5
	v_lshl_add_u32 v6, v6, 23, v126
	v_or3_b32 v81, v5, v6, v4
.LBB4_294:                              ;   in Loop: Header=BB4_62 Depth=1
	s_or_b64 exec, exec, s[6:7]
	v_lshrrev_b16_sdwa v5, v124, v34 dst_sel:DWORD dst_unused:UNUSED_PAD src0_sel:DWORD src1_sel:WORD_1
	v_cmp_lt_i16_e32 vcc, s24, v5
	s_mov_b64 s[4:5], 0
                                        ; implicit-def: $sgpr10
	s_and_saveexec_b64 s[6:7], vcc
	s_xor_b64 s[6:7], exec, s[6:7]
	s_cbranch_execnz .LBB4_1317
; %bb.295:                              ;   in Loop: Header=BB4_62 Depth=1
	s_or_saveexec_b64 s[6:7], s[6:7]
	v_mov_b32_e32 v4, s10
	s_xor_b64 exec, exec, s[6:7]
	s_cbranch_execnz .LBB4_1320
.LBB4_296:                              ;   in Loop: Header=BB4_62 Depth=1
	s_or_b64 exec, exec, s[6:7]
	s_and_saveexec_b64 s[6:7], s[4:5]
	s_cbranch_execz .LBB4_298
.LBB4_297:                              ;   in Loop: Header=BB4_62 Depth=1
	v_and_b32_e32 v4, 7, v5
	v_ffbh_u32_e32 v7, v4
	v_min_u32_e32 v7, 32, v7
	v_lshrrev_b16_sdwa v6, v60, v34 dst_sel:DWORD dst_unused:UNUSED_PAD src0_sel:DWORD src1_sel:WORD_1
	v_subrev_u32_e32 v8, 28, v7
	v_and_b32_e32 v6, 15, v6
	v_lshlrev_b32_e32 v8, v8, v4
	v_sub_u32_e32 v7, 29, v7
	v_and_b32_e32 v8, 7, v8
	v_cmp_eq_u16_e32 vcc, 0, v6
	v_lshrrev_b16_sdwa v5, v44, v34 dst_sel:DWORD dst_unused:UNUSED_PAD src0_sel:DWORD src1_sel:WORD_1
	v_cndmask_b32_e32 v4, v4, v8, vcc
	v_cndmask_b32_e32 v6, v6, v7, vcc
	v_lshlrev_b32_e32 v4, 20, v4
	v_lshlrev_b32_e32 v5, 31, v5
	v_lshl_add_u32 v6, v6, 23, v126
	v_or3_b32 v4, v5, v6, v4
.LBB4_298:                              ;   in Loop: Header=BB4_62 Depth=1
	s_or_b64 exec, exec, s[6:7]
	v_cmp_gt_i16_sdwa s[6:7], v35, s24 src0_sel:BYTE_0 src1_sel:DWORD
	s_mov_b64 s[4:5], 0
                                        ; implicit-def: $sgpr10
	s_and_saveexec_b64 s[8:9], s[6:7]
	s_xor_b64 s[6:7], exec, s[8:9]
	s_cbranch_execnz .LBB4_1321
; %bb.299:                              ;   in Loop: Header=BB4_62 Depth=1
	s_or_saveexec_b64 s[6:7], s[6:7]
	v_mov_b32_e32 v5, s10
	s_xor_b64 exec, exec, s[6:7]
	s_cbranch_execnz .LBB4_1324
.LBB4_300:                              ;   in Loop: Header=BB4_62 Depth=1
	s_or_b64 exec, exec, s[6:7]
	s_and_saveexec_b64 s[6:7], s[4:5]
	s_cbranch_execz .LBB4_302
.LBB4_301:                              ;   in Loop: Header=BB4_62 Depth=1
	v_and_b32_e32 v5, 7, v35
	v_ffbh_u32_e32 v8, v5
	v_min_u32_e32 v8, 32, v8
	v_lshrrev_b16_e32 v7, 3, v35
	v_subrev_u32_e32 v9, 28, v8
	v_and_b32_e32 v7, 15, v7
	v_lshlrev_b32_e32 v9, v9, v5
	v_sub_u32_e32 v8, 29, v8
	v_and_b32_e32 v9, 7, v9
	v_cmp_eq_u16_e32 vcc, 0, v7
	v_lshrrev_b16_e32 v6, 7, v35
	v_cndmask_b32_e32 v5, v5, v9, vcc
	v_cndmask_b32_e32 v7, v7, v8, vcc
	v_lshlrev_b32_e32 v5, 20, v5
	v_lshlrev_b32_e32 v6, 31, v6
	v_lshl_add_u32 v7, v7, 23, v126
	v_or3_b32 v5, v6, v7, v5
.LBB4_302:                              ;   in Loop: Header=BB4_62 Depth=1
	s_or_b64 exec, exec, s[6:7]
	v_cmp_gt_i16_sdwa s[6:7], v35, s24 src0_sel:BYTE_1 src1_sel:DWORD
	s_mov_b64 s[4:5], 0
                                        ; implicit-def: $sgpr10
	s_and_saveexec_b64 s[8:9], s[6:7]
	s_xor_b64 s[6:7], exec, s[8:9]
	s_cbranch_execnz .LBB4_1325
; %bb.303:                              ;   in Loop: Header=BB4_62 Depth=1
	s_or_saveexec_b64 s[6:7], s[6:7]
	v_mov_b32_e32 v6, s10
	s_xor_b64 exec, exec, s[6:7]
	s_cbranch_execnz .LBB4_1328
.LBB4_304:                              ;   in Loop: Header=BB4_62 Depth=1
	s_or_b64 exec, exec, s[6:7]
	s_and_saveexec_b64 s[6:7], s[4:5]
	s_cbranch_execz .LBB4_306
.LBB4_305:                              ;   in Loop: Header=BB4_62 Depth=1
	v_and_b32_sdwa v6, v35, v116 dst_sel:DWORD dst_unused:UNUSED_PAD src0_sel:BYTE_1 src1_sel:DWORD
	v_ffbh_u32_e32 v9, v6
	v_min_u32_e32 v9, 32, v9
	v_lshrrev_b16_e32 v8, 11, v35
	v_subrev_u32_e32 v10, 28, v9
	v_and_b32_e32 v8, 15, v8
	v_lshlrev_b32_e32 v10, v10, v6
	v_sub_u32_e32 v9, 29, v9
	v_and_b32_e32 v10, 7, v10
	v_cmp_eq_u16_e32 vcc, 0, v8
	v_lshrrev_b16_e32 v7, 15, v35
	v_cndmask_b32_e32 v6, v6, v10, vcc
	v_cndmask_b32_e32 v8, v8, v9, vcc
	v_lshlrev_b32_e32 v6, 20, v6
	v_lshlrev_b32_e32 v7, 31, v7
	v_lshl_add_u32 v8, v8, 23, v126
	v_or3_b32 v6, v7, v8, v6
.LBB4_306:                              ;   in Loop: Header=BB4_62 Depth=1
	s_or_b64 exec, exec, s[6:7]
	v_and_b32_sdwa v8, v35, s23 dst_sel:DWORD dst_unused:UNUSED_PAD src0_sel:WORD_1 src1_sel:DWORD
	v_cmp_lt_i16_e32 vcc, s24, v8
	s_mov_b64 s[4:5], 0
                                        ; implicit-def: $sgpr10
	s_and_saveexec_b64 s[6:7], vcc
	s_xor_b64 s[6:7], exec, s[6:7]
	s_cbranch_execnz .LBB4_1329
; %bb.307:                              ;   in Loop: Header=BB4_62 Depth=1
	s_or_saveexec_b64 s[6:7], s[6:7]
	v_mov_b32_e32 v7, s10
	s_xor_b64 exec, exec, s[6:7]
	s_cbranch_execnz .LBB4_1332
.LBB4_308:                              ;   in Loop: Header=BB4_62 Depth=1
	s_or_b64 exec, exec, s[6:7]
	s_and_saveexec_b64 s[6:7], s[4:5]
	s_cbranch_execz .LBB4_310
.LBB4_309:                              ;   in Loop: Header=BB4_62 Depth=1
	v_and_b32_sdwa v7, v35, v116 dst_sel:DWORD dst_unused:UNUSED_PAD src0_sel:WORD_1 src1_sel:DWORD
	v_ffbh_u32_e32 v10, v7
	v_min_u32_e32 v10, 32, v10
	v_lshrrev_b16_sdwa v9, v117, v35 dst_sel:DWORD dst_unused:UNUSED_PAD src0_sel:DWORD src1_sel:WORD_1
	v_subrev_u32_e32 v11, 28, v10
	v_and_b32_e32 v9, 15, v9
	v_lshlrev_b32_e32 v11, v11, v7
	v_sub_u32_e32 v10, 29, v10
	v_and_b32_e32 v11, 7, v11
	v_cmp_eq_u16_e32 vcc, 0, v9
	v_lshrrev_b16_sdwa v8, v116, v35 dst_sel:DWORD dst_unused:UNUSED_PAD src0_sel:DWORD src1_sel:WORD_1
	v_cndmask_b32_e32 v7, v7, v11, vcc
	v_cndmask_b32_e32 v9, v9, v10, vcc
	v_lshlrev_b32_e32 v7, 20, v7
	v_lshlrev_b32_e32 v8, 31, v8
	v_lshl_add_u32 v9, v9, 23, v126
	v_or3_b32 v7, v8, v9, v7
.LBB4_310:                              ;   in Loop: Header=BB4_62 Depth=1
	s_or_b64 exec, exec, s[6:7]
	v_lshrrev_b16_sdwa v34, v124, v35 dst_sel:DWORD dst_unused:UNUSED_PAD src0_sel:DWORD src1_sel:WORD_1
	v_cmp_lt_i16_e32 vcc, s24, v34
	s_mov_b64 s[4:5], 0
                                        ; implicit-def: $sgpr10
	s_and_saveexec_b64 s[6:7], vcc
	s_xor_b64 s[6:7], exec, s[6:7]
	s_cbranch_execnz .LBB4_1333
; %bb.311:                              ;   in Loop: Header=BB4_62 Depth=1
	s_or_saveexec_b64 s[6:7], s[6:7]
	v_mov_b32_e32 v82, s10
	s_xor_b64 exec, exec, s[6:7]
	s_cbranch_execnz .LBB4_1336
.LBB4_312:                              ;   in Loop: Header=BB4_62 Depth=1
	s_or_b64 exec, exec, s[6:7]
	s_and_saveexec_b64 s[6:7], s[4:5]
	s_cbranch_execz .LBB4_314
.LBB4_313:                              ;   in Loop: Header=BB4_62 Depth=1
	v_and_b32_e32 v8, 7, v34
	v_ffbh_u32_e32 v11, v8
	v_min_u32_e32 v11, 32, v11
	v_lshrrev_b16_sdwa v10, v60, v35 dst_sel:DWORD dst_unused:UNUSED_PAD src0_sel:DWORD src1_sel:WORD_1
	v_subrev_u32_e32 v34, 28, v11
	v_and_b32_e32 v10, 15, v10
	v_lshlrev_b32_e32 v34, v34, v8
	v_sub_u32_e32 v11, 29, v11
	v_and_b32_e32 v34, 7, v34
	v_cmp_eq_u16_e32 vcc, 0, v10
	v_lshrrev_b16_sdwa v9, v44, v35 dst_sel:DWORD dst_unused:UNUSED_PAD src0_sel:DWORD src1_sel:WORD_1
	v_cndmask_b32_e32 v8, v8, v34, vcc
	v_cndmask_b32_e32 v10, v10, v11, vcc
	v_lshlrev_b32_e32 v8, 20, v8
	v_lshlrev_b32_e32 v9, 31, v9
	v_lshl_add_u32 v10, v10, 23, v126
	v_or3_b32 v82, v9, v10, v8
.LBB4_314:                              ;   in Loop: Header=BB4_62 Depth=1
	s_or_b64 exec, exec, s[6:7]
	v_cvt_pkrtz_f16_f32 v8, v67, v68
	v_cvt_pkrtz_f16_f32 v4, v81, v4
	;; [unrolled: 1-line block ×8, first 2 shown]
	buffer_store_dword v8, off, s[0:3], s33 offset:68
	buffer_store_dword v6, off, s[0:3], s33 offset:64
	;; [unrolled: 1-line block ×8, first 2 shown]
	v_add_u32_e32 v4, 48, v49
	v_ashrrev_i32_e32 v5, 31, v4
	v_lshrrev_b32_e32 v5, 28, v5
	v_add_u32_e32 v5, v4, v5
	v_ashrrev_i32_e32 v64, 4, v5
	v_and_b32_e32 v5, -16, v5
	v_sub_u32_e32 v49, v4, v5
	v_add_u32_e32 v4, v64, v52
	v_xor_b32_e32 v4, v4, v65
	v_sub_u32_e32 v4, v4, v38
	v_lshlrev_b32_e32 v4, 4, v4
	v_add3_u32 v4, v49, v53, v4
	v_ashrrev_i32_e32 v5, 31, v4
	v_add_co_u32_e32 v4, vcc, v36, v4
	v_addc_co_u32_e32 v5, vcc, v37, v5, vcc
	flat_load_dwordx4 v[32:35], v[4:5]
	s_mov_b64 s[4:5], 0
                                        ; implicit-def: $sgpr10
	s_waitcnt vmcnt(0) lgkmcnt(0)
	v_cmp_gt_i16_sdwa s[6:7], v32, s24 src0_sel:BYTE_0 src1_sel:DWORD
	s_and_saveexec_b64 s[8:9], s[6:7]
	s_xor_b64 s[6:7], exec, s[8:9]
	s_cbranch_execnz .LBB4_1337
; %bb.315:                              ;   in Loop: Header=BB4_62 Depth=1
	s_or_saveexec_b64 s[6:7], s[6:7]
	v_mov_b32_e32 v52, s10
	s_xor_b64 exec, exec, s[6:7]
	s_cbranch_execnz .LBB4_1340
.LBB4_316:                              ;   in Loop: Header=BB4_62 Depth=1
	s_or_b64 exec, exec, s[6:7]
	s_and_saveexec_b64 s[6:7], s[4:5]
	s_cbranch_execz .LBB4_318
.LBB4_317:                              ;   in Loop: Header=BB4_62 Depth=1
	v_and_b32_e32 v4, 7, v32
	v_ffbh_u32_e32 v7, v4
	v_min_u32_e32 v7, 32, v7
	v_lshrrev_b16_e32 v6, 3, v32
	v_subrev_u32_e32 v8, 28, v7
	v_and_b32_e32 v6, 15, v6
	v_lshlrev_b32_e32 v8, v8, v4
	v_sub_u32_e32 v7, 29, v7
	v_and_b32_e32 v8, 7, v8
	v_cmp_eq_u16_e32 vcc, 0, v6
	v_lshrrev_b16_e32 v5, 7, v32
	v_cndmask_b32_e32 v4, v4, v8, vcc
	v_cndmask_b32_e32 v6, v6, v7, vcc
	v_lshlrev_b32_e32 v4, 20, v4
	v_lshlrev_b32_e32 v5, 31, v5
	v_lshl_add_u32 v6, v6, 23, v126
	v_or3_b32 v52, v5, v6, v4
.LBB4_318:                              ;   in Loop: Header=BB4_62 Depth=1
	s_or_b64 exec, exec, s[6:7]
	v_cmp_gt_i16_sdwa s[6:7], v32, s24 src0_sel:BYTE_1 src1_sel:DWORD
	s_mov_b64 s[4:5], 0
                                        ; implicit-def: $sgpr10
	s_and_saveexec_b64 s[8:9], s[6:7]
	s_xor_b64 s[6:7], exec, s[8:9]
	s_cbranch_execnz .LBB4_1341
; %bb.319:                              ;   in Loop: Header=BB4_62 Depth=1
	s_or_saveexec_b64 s[6:7], s[6:7]
	v_mov_b32_e32 v53, s10
	s_xor_b64 exec, exec, s[6:7]
	s_cbranch_execnz .LBB4_1344
.LBB4_320:                              ;   in Loop: Header=BB4_62 Depth=1
	s_or_b64 exec, exec, s[6:7]
	s_and_saveexec_b64 s[6:7], s[4:5]
	s_cbranch_execz .LBB4_322
.LBB4_321:                              ;   in Loop: Header=BB4_62 Depth=1
	v_and_b32_sdwa v4, v32, v116 dst_sel:DWORD dst_unused:UNUSED_PAD src0_sel:BYTE_1 src1_sel:DWORD
	v_ffbh_u32_e32 v7, v4
	v_min_u32_e32 v7, 32, v7
	v_lshrrev_b16_e32 v6, 11, v32
	v_subrev_u32_e32 v8, 28, v7
	v_and_b32_e32 v6, 15, v6
	v_lshlrev_b32_e32 v8, v8, v4
	v_sub_u32_e32 v7, 29, v7
	v_and_b32_e32 v8, 7, v8
	v_cmp_eq_u16_e32 vcc, 0, v6
	v_lshrrev_b16_e32 v5, 15, v32
	v_cndmask_b32_e32 v4, v4, v8, vcc
	v_cndmask_b32_e32 v6, v6, v7, vcc
	v_lshlrev_b32_e32 v4, 20, v4
	v_lshlrev_b32_e32 v5, 31, v5
	v_lshl_add_u32 v6, v6, 23, v126
	v_or3_b32 v53, v5, v6, v4
.LBB4_322:                              ;   in Loop: Header=BB4_62 Depth=1
	s_or_b64 exec, exec, s[6:7]
	v_and_b32_sdwa v4, v32, s23 dst_sel:DWORD dst_unused:UNUSED_PAD src0_sel:WORD_1 src1_sel:DWORD
	v_cmp_lt_i16_e32 vcc, s24, v4
	s_mov_b64 s[4:5], 0
                                        ; implicit-def: $sgpr10
	s_and_saveexec_b64 s[6:7], vcc
	s_xor_b64 s[6:7], exec, s[6:7]
	s_cbranch_execnz .LBB4_1345
; %bb.323:                              ;   in Loop: Header=BB4_62 Depth=1
	s_or_saveexec_b64 s[6:7], s[6:7]
	v_mov_b32_e32 v65, s10
	s_xor_b64 exec, exec, s[6:7]
	s_cbranch_execnz .LBB4_1348
.LBB4_324:                              ;   in Loop: Header=BB4_62 Depth=1
	s_or_b64 exec, exec, s[6:7]
	s_and_saveexec_b64 s[6:7], s[4:5]
	s_cbranch_execz .LBB4_326
.LBB4_325:                              ;   in Loop: Header=BB4_62 Depth=1
	v_and_b32_sdwa v4, v32, v116 dst_sel:DWORD dst_unused:UNUSED_PAD src0_sel:WORD_1 src1_sel:DWORD
	v_ffbh_u32_e32 v7, v4
	v_min_u32_e32 v7, 32, v7
	v_lshrrev_b16_sdwa v6, v117, v32 dst_sel:DWORD dst_unused:UNUSED_PAD src0_sel:DWORD src1_sel:WORD_1
	v_subrev_u32_e32 v8, 28, v7
	v_and_b32_e32 v6, 15, v6
	v_lshlrev_b32_e32 v8, v8, v4
	v_sub_u32_e32 v7, 29, v7
	v_and_b32_e32 v8, 7, v8
	v_cmp_eq_u16_e32 vcc, 0, v6
	v_lshrrev_b16_sdwa v5, v116, v32 dst_sel:DWORD dst_unused:UNUSED_PAD src0_sel:DWORD src1_sel:WORD_1
	v_cndmask_b32_e32 v4, v4, v8, vcc
	v_cndmask_b32_e32 v6, v6, v7, vcc
	v_lshlrev_b32_e32 v4, 20, v4
	v_lshlrev_b32_e32 v5, 31, v5
	v_lshl_add_u32 v6, v6, 23, v126
	v_or3_b32 v65, v5, v6, v4
.LBB4_326:                              ;   in Loop: Header=BB4_62 Depth=1
	s_or_b64 exec, exec, s[6:7]
	v_lshrrev_b16_sdwa v4, v124, v32 dst_sel:DWORD dst_unused:UNUSED_PAD src0_sel:DWORD src1_sel:WORD_1
	v_cmp_lt_i16_e32 vcc, s24, v4
	s_mov_b64 s[4:5], 0
                                        ; implicit-def: $sgpr10
	s_and_saveexec_b64 s[6:7], vcc
	s_xor_b64 s[6:7], exec, s[6:7]
	s_cbranch_execnz .LBB4_1349
; %bb.327:                              ;   in Loop: Header=BB4_62 Depth=1
	s_or_saveexec_b64 s[6:7], s[6:7]
	v_mov_b32_e32 v66, s10
	s_xor_b64 exec, exec, s[6:7]
	s_cbranch_execnz .LBB4_1352
.LBB4_328:                              ;   in Loop: Header=BB4_62 Depth=1
	s_or_b64 exec, exec, s[6:7]
	s_and_saveexec_b64 s[6:7], s[4:5]
	s_cbranch_execz .LBB4_330
.LBB4_329:                              ;   in Loop: Header=BB4_62 Depth=1
	v_and_b32_e32 v4, 7, v4
	v_ffbh_u32_e32 v7, v4
	v_min_u32_e32 v7, 32, v7
	v_lshrrev_b16_sdwa v6, v60, v32 dst_sel:DWORD dst_unused:UNUSED_PAD src0_sel:DWORD src1_sel:WORD_1
	v_subrev_u32_e32 v8, 28, v7
	v_and_b32_e32 v6, 15, v6
	v_lshlrev_b32_e32 v8, v8, v4
	v_sub_u32_e32 v7, 29, v7
	v_and_b32_e32 v8, 7, v8
	v_cmp_eq_u16_e32 vcc, 0, v6
	v_lshrrev_b16_sdwa v5, v44, v32 dst_sel:DWORD dst_unused:UNUSED_PAD src0_sel:DWORD src1_sel:WORD_1
	v_cndmask_b32_e32 v4, v4, v8, vcc
	v_cndmask_b32_e32 v6, v6, v7, vcc
	v_lshlrev_b32_e32 v4, 20, v4
	v_lshlrev_b32_e32 v5, 31, v5
	v_lshl_add_u32 v6, v6, 23, v126
	v_or3_b32 v66, v5, v6, v4
.LBB4_330:                              ;   in Loop: Header=BB4_62 Depth=1
	s_or_b64 exec, exec, s[6:7]
	v_cmp_gt_i16_sdwa s[6:7], v33, s24 src0_sel:BYTE_0 src1_sel:DWORD
	s_mov_b64 s[4:5], 0
                                        ; implicit-def: $sgpr10
	s_and_saveexec_b64 s[8:9], s[6:7]
	s_xor_b64 s[6:7], exec, s[8:9]
	s_cbranch_execnz .LBB4_1353
; %bb.331:                              ;   in Loop: Header=BB4_62 Depth=1
	s_or_saveexec_b64 s[6:7], s[6:7]
	v_mov_b32_e32 v32, s10
	s_xor_b64 exec, exec, s[6:7]
	s_cbranch_execnz .LBB4_1356
.LBB4_332:                              ;   in Loop: Header=BB4_62 Depth=1
	s_or_b64 exec, exec, s[6:7]
	s_and_saveexec_b64 s[6:7], s[4:5]
	s_cbranch_execz .LBB4_334
.LBB4_333:                              ;   in Loop: Header=BB4_62 Depth=1
	v_and_b32_e32 v4, 7, v33
	v_ffbh_u32_e32 v7, v4
	v_min_u32_e32 v7, 32, v7
	v_lshrrev_b16_e32 v6, 3, v33
	v_subrev_u32_e32 v8, 28, v7
	v_and_b32_e32 v6, 15, v6
	v_lshlrev_b32_e32 v8, v8, v4
	v_sub_u32_e32 v7, 29, v7
	v_and_b32_e32 v8, 7, v8
	v_cmp_eq_u16_e32 vcc, 0, v6
	v_lshrrev_b16_e32 v5, 7, v33
	v_cndmask_b32_e32 v4, v4, v8, vcc
	v_cndmask_b32_e32 v6, v6, v7, vcc
	v_lshlrev_b32_e32 v4, 20, v4
	v_lshlrev_b32_e32 v5, 31, v5
	v_lshl_add_u32 v6, v6, 23, v126
	v_or3_b32 v32, v5, v6, v4
.LBB4_334:                              ;   in Loop: Header=BB4_62 Depth=1
	s_or_b64 exec, exec, s[6:7]
	v_cmp_gt_i16_sdwa s[6:7], v33, s24 src0_sel:BYTE_1 src1_sel:DWORD
	s_mov_b64 s[4:5], 0
                                        ; implicit-def: $sgpr10
	s_and_saveexec_b64 s[8:9], s[6:7]
	s_xor_b64 s[6:7], exec, s[8:9]
	s_cbranch_execnz .LBB4_1357
; %bb.335:                              ;   in Loop: Header=BB4_62 Depth=1
	s_or_saveexec_b64 s[6:7], s[6:7]
	v_mov_b32_e32 v67, s10
	s_xor_b64 exec, exec, s[6:7]
	s_cbranch_execnz .LBB4_1360
.LBB4_336:                              ;   in Loop: Header=BB4_62 Depth=1
	s_or_b64 exec, exec, s[6:7]
	s_and_saveexec_b64 s[6:7], s[4:5]
	s_cbranch_execz .LBB4_338
.LBB4_337:                              ;   in Loop: Header=BB4_62 Depth=1
	v_and_b32_sdwa v4, v33, v116 dst_sel:DWORD dst_unused:UNUSED_PAD src0_sel:BYTE_1 src1_sel:DWORD
	v_ffbh_u32_e32 v7, v4
	v_min_u32_e32 v7, 32, v7
	v_lshrrev_b16_e32 v6, 11, v33
	v_subrev_u32_e32 v8, 28, v7
	v_and_b32_e32 v6, 15, v6
	v_lshlrev_b32_e32 v8, v8, v4
	v_sub_u32_e32 v7, 29, v7
	v_and_b32_e32 v8, 7, v8
	v_cmp_eq_u16_e32 vcc, 0, v6
	v_lshrrev_b16_e32 v5, 15, v33
	v_cndmask_b32_e32 v4, v4, v8, vcc
	v_cndmask_b32_e32 v6, v6, v7, vcc
	v_lshlrev_b32_e32 v4, 20, v4
	v_lshlrev_b32_e32 v5, 31, v5
	v_lshl_add_u32 v6, v6, 23, v126
	v_or3_b32 v67, v5, v6, v4
.LBB4_338:                              ;   in Loop: Header=BB4_62 Depth=1
	s_or_b64 exec, exec, s[6:7]
	v_and_b32_sdwa v4, v33, s23 dst_sel:DWORD dst_unused:UNUSED_PAD src0_sel:WORD_1 src1_sel:DWORD
	v_cmp_lt_i16_e32 vcc, s24, v4
	s_mov_b64 s[4:5], 0
                                        ; implicit-def: $sgpr10
	s_and_saveexec_b64 s[6:7], vcc
	s_xor_b64 s[6:7], exec, s[6:7]
	s_cbranch_execnz .LBB4_1361
; %bb.339:                              ;   in Loop: Header=BB4_62 Depth=1
	s_or_saveexec_b64 s[6:7], s[6:7]
	v_mov_b32_e32 v68, s10
	s_xor_b64 exec, exec, s[6:7]
	s_cbranch_execnz .LBB4_1364
.LBB4_340:                              ;   in Loop: Header=BB4_62 Depth=1
	s_or_b64 exec, exec, s[6:7]
	s_and_saveexec_b64 s[6:7], s[4:5]
	s_cbranch_execz .LBB4_342
.LBB4_341:                              ;   in Loop: Header=BB4_62 Depth=1
	v_and_b32_sdwa v4, v33, v116 dst_sel:DWORD dst_unused:UNUSED_PAD src0_sel:WORD_1 src1_sel:DWORD
	v_ffbh_u32_e32 v7, v4
	v_min_u32_e32 v7, 32, v7
	v_lshrrev_b16_sdwa v6, v117, v33 dst_sel:DWORD dst_unused:UNUSED_PAD src0_sel:DWORD src1_sel:WORD_1
	v_subrev_u32_e32 v8, 28, v7
	v_and_b32_e32 v6, 15, v6
	v_lshlrev_b32_e32 v8, v8, v4
	v_sub_u32_e32 v7, 29, v7
	v_and_b32_e32 v8, 7, v8
	v_cmp_eq_u16_e32 vcc, 0, v6
	v_lshrrev_b16_sdwa v5, v116, v33 dst_sel:DWORD dst_unused:UNUSED_PAD src0_sel:DWORD src1_sel:WORD_1
	v_cndmask_b32_e32 v4, v4, v8, vcc
	v_cndmask_b32_e32 v6, v6, v7, vcc
	v_lshlrev_b32_e32 v4, 20, v4
	v_lshlrev_b32_e32 v5, 31, v5
	v_lshl_add_u32 v6, v6, 23, v126
	v_or3_b32 v68, v5, v6, v4
.LBB4_342:                              ;   in Loop: Header=BB4_62 Depth=1
	s_or_b64 exec, exec, s[6:7]
	v_lshrrev_b16_sdwa v4, v124, v33 dst_sel:DWORD dst_unused:UNUSED_PAD src0_sel:DWORD src1_sel:WORD_1
	v_cmp_lt_i16_e32 vcc, s24, v4
	s_mov_b64 s[4:5], 0
                                        ; implicit-def: $sgpr10
	s_and_saveexec_b64 s[6:7], vcc
	s_xor_b64 s[6:7], exec, s[6:7]
	s_cbranch_execnz .LBB4_1365
; %bb.343:                              ;   in Loop: Header=BB4_62 Depth=1
	s_or_saveexec_b64 s[6:7], s[6:7]
	v_mov_b32_e32 v69, s10
	s_xor_b64 exec, exec, s[6:7]
	s_cbranch_execnz .LBB4_1368
.LBB4_344:                              ;   in Loop: Header=BB4_62 Depth=1
	s_or_b64 exec, exec, s[6:7]
	s_and_saveexec_b64 s[6:7], s[4:5]
	s_cbranch_execz .LBB4_346
.LBB4_345:                              ;   in Loop: Header=BB4_62 Depth=1
	v_and_b32_e32 v4, 7, v4
	v_ffbh_u32_e32 v7, v4
	v_min_u32_e32 v7, 32, v7
	v_lshrrev_b16_sdwa v6, v60, v33 dst_sel:DWORD dst_unused:UNUSED_PAD src0_sel:DWORD src1_sel:WORD_1
	v_subrev_u32_e32 v8, 28, v7
	v_and_b32_e32 v6, 15, v6
	v_lshlrev_b32_e32 v8, v8, v4
	v_sub_u32_e32 v7, 29, v7
	v_and_b32_e32 v8, 7, v8
	v_cmp_eq_u16_e32 vcc, 0, v6
	v_lshrrev_b16_sdwa v5, v44, v33 dst_sel:DWORD dst_unused:UNUSED_PAD src0_sel:DWORD src1_sel:WORD_1
	v_cndmask_b32_e32 v4, v4, v8, vcc
	v_cndmask_b32_e32 v6, v6, v7, vcc
	v_lshlrev_b32_e32 v4, 20, v4
	v_lshlrev_b32_e32 v5, 31, v5
	v_lshl_add_u32 v6, v6, 23, v126
	v_or3_b32 v69, v5, v6, v4
.LBB4_346:                              ;   in Loop: Header=BB4_62 Depth=1
	s_or_b64 exec, exec, s[6:7]
	v_cmp_gt_i16_sdwa s[6:7], v34, s24 src0_sel:BYTE_0 src1_sel:DWORD
	s_mov_b64 s[4:5], 0
                                        ; implicit-def: $sgpr10
	s_and_saveexec_b64 s[8:9], s[6:7]
	s_xor_b64 s[6:7], exec, s[8:9]
	s_cbranch_execnz .LBB4_1369
; %bb.347:                              ;   in Loop: Header=BB4_62 Depth=1
	s_or_saveexec_b64 s[6:7], s[6:7]
	v_mov_b32_e32 v33, s10
	s_xor_b64 exec, exec, s[6:7]
	s_cbranch_execnz .LBB4_1372
.LBB4_348:                              ;   in Loop: Header=BB4_62 Depth=1
	s_or_b64 exec, exec, s[6:7]
	s_and_saveexec_b64 s[6:7], s[4:5]
	s_cbranch_execz .LBB4_350
.LBB4_349:                              ;   in Loop: Header=BB4_62 Depth=1
	v_and_b32_e32 v4, 7, v34
	v_ffbh_u32_e32 v7, v4
	v_min_u32_e32 v7, 32, v7
	v_lshrrev_b16_e32 v6, 3, v34
	v_subrev_u32_e32 v8, 28, v7
	v_and_b32_e32 v6, 15, v6
	v_lshlrev_b32_e32 v8, v8, v4
	v_sub_u32_e32 v7, 29, v7
	v_and_b32_e32 v8, 7, v8
	v_cmp_eq_u16_e32 vcc, 0, v6
	v_lshrrev_b16_e32 v5, 7, v34
	v_cndmask_b32_e32 v4, v4, v8, vcc
	v_cndmask_b32_e32 v6, v6, v7, vcc
	v_lshlrev_b32_e32 v4, 20, v4
	v_lshlrev_b32_e32 v5, 31, v5
	v_lshl_add_u32 v6, v6, 23, v126
	v_or3_b32 v33, v5, v6, v4
.LBB4_350:                              ;   in Loop: Header=BB4_62 Depth=1
	s_or_b64 exec, exec, s[6:7]
	v_cmp_gt_i16_sdwa s[6:7], v34, s24 src0_sel:BYTE_1 src1_sel:DWORD
	s_mov_b64 s[4:5], 0
                                        ; implicit-def: $sgpr10
	s_and_saveexec_b64 s[8:9], s[6:7]
	s_xor_b64 s[6:7], exec, s[8:9]
	s_cbranch_execnz .LBB4_1373
; %bb.351:                              ;   in Loop: Header=BB4_62 Depth=1
	s_or_saveexec_b64 s[6:7], s[6:7]
	v_mov_b32_e32 v70, s10
	s_xor_b64 exec, exec, s[6:7]
	s_cbranch_execnz .LBB4_1376
.LBB4_352:                              ;   in Loop: Header=BB4_62 Depth=1
	s_or_b64 exec, exec, s[6:7]
	s_and_saveexec_b64 s[6:7], s[4:5]
	s_cbranch_execz .LBB4_354
.LBB4_353:                              ;   in Loop: Header=BB4_62 Depth=1
	v_and_b32_sdwa v4, v34, v116 dst_sel:DWORD dst_unused:UNUSED_PAD src0_sel:BYTE_1 src1_sel:DWORD
	v_ffbh_u32_e32 v7, v4
	v_min_u32_e32 v7, 32, v7
	v_lshrrev_b16_e32 v6, 11, v34
	v_subrev_u32_e32 v8, 28, v7
	v_and_b32_e32 v6, 15, v6
	v_lshlrev_b32_e32 v8, v8, v4
	v_sub_u32_e32 v7, 29, v7
	v_and_b32_e32 v8, 7, v8
	v_cmp_eq_u16_e32 vcc, 0, v6
	v_lshrrev_b16_e32 v5, 15, v34
	v_cndmask_b32_e32 v4, v4, v8, vcc
	v_cndmask_b32_e32 v6, v6, v7, vcc
	v_lshlrev_b32_e32 v4, 20, v4
	v_lshlrev_b32_e32 v5, 31, v5
	v_lshl_add_u32 v6, v6, 23, v126
	v_or3_b32 v70, v5, v6, v4
.LBB4_354:                              ;   in Loop: Header=BB4_62 Depth=1
	s_or_b64 exec, exec, s[6:7]
	v_and_b32_sdwa v4, v34, s23 dst_sel:DWORD dst_unused:UNUSED_PAD src0_sel:WORD_1 src1_sel:DWORD
	v_cmp_lt_i16_e32 vcc, s24, v4
	s_mov_b64 s[4:5], 0
                                        ; implicit-def: $sgpr10
	s_and_saveexec_b64 s[6:7], vcc
	s_xor_b64 s[6:7], exec, s[6:7]
	s_cbranch_execnz .LBB4_1377
; %bb.355:                              ;   in Loop: Header=BB4_62 Depth=1
	s_or_saveexec_b64 s[6:7], s[6:7]
	v_mov_b32_e32 v71, s10
	s_xor_b64 exec, exec, s[6:7]
	s_cbranch_execnz .LBB4_1380
.LBB4_356:                              ;   in Loop: Header=BB4_62 Depth=1
	s_or_b64 exec, exec, s[6:7]
	s_and_saveexec_b64 s[6:7], s[4:5]
	s_cbranch_execz .LBB4_358
.LBB4_357:                              ;   in Loop: Header=BB4_62 Depth=1
	v_and_b32_sdwa v4, v34, v116 dst_sel:DWORD dst_unused:UNUSED_PAD src0_sel:WORD_1 src1_sel:DWORD
	v_ffbh_u32_e32 v7, v4
	v_min_u32_e32 v7, 32, v7
	v_lshrrev_b16_sdwa v6, v117, v34 dst_sel:DWORD dst_unused:UNUSED_PAD src0_sel:DWORD src1_sel:WORD_1
	v_subrev_u32_e32 v8, 28, v7
	v_and_b32_e32 v6, 15, v6
	v_lshlrev_b32_e32 v8, v8, v4
	v_sub_u32_e32 v7, 29, v7
	v_and_b32_e32 v8, 7, v8
	v_cmp_eq_u16_e32 vcc, 0, v6
	v_lshrrev_b16_sdwa v5, v116, v34 dst_sel:DWORD dst_unused:UNUSED_PAD src0_sel:DWORD src1_sel:WORD_1
	v_cndmask_b32_e32 v4, v4, v8, vcc
	v_cndmask_b32_e32 v6, v6, v7, vcc
	v_lshlrev_b32_e32 v4, 20, v4
	v_lshlrev_b32_e32 v5, 31, v5
	v_lshl_add_u32 v6, v6, 23, v126
	v_or3_b32 v71, v5, v6, v4
.LBB4_358:                              ;   in Loop: Header=BB4_62 Depth=1
	s_or_b64 exec, exec, s[6:7]
	v_lshrrev_b16_sdwa v5, v124, v34 dst_sel:DWORD dst_unused:UNUSED_PAD src0_sel:DWORD src1_sel:WORD_1
	v_cmp_lt_i16_e32 vcc, s24, v5
	s_mov_b64 s[4:5], 0
                                        ; implicit-def: $sgpr10
	s_and_saveexec_b64 s[6:7], vcc
	s_xor_b64 s[6:7], exec, s[6:7]
	s_cbranch_execnz .LBB4_1381
; %bb.359:                              ;   in Loop: Header=BB4_62 Depth=1
	s_or_saveexec_b64 s[6:7], s[6:7]
	v_mov_b32_e32 v4, s10
	s_xor_b64 exec, exec, s[6:7]
	s_cbranch_execnz .LBB4_1384
.LBB4_360:                              ;   in Loop: Header=BB4_62 Depth=1
	s_or_b64 exec, exec, s[6:7]
	s_and_saveexec_b64 s[6:7], s[4:5]
	s_cbranch_execz .LBB4_362
.LBB4_361:                              ;   in Loop: Header=BB4_62 Depth=1
	v_and_b32_e32 v4, 7, v5
	v_ffbh_u32_e32 v7, v4
	v_min_u32_e32 v7, 32, v7
	v_lshrrev_b16_sdwa v6, v60, v34 dst_sel:DWORD dst_unused:UNUSED_PAD src0_sel:DWORD src1_sel:WORD_1
	v_subrev_u32_e32 v8, 28, v7
	v_and_b32_e32 v6, 15, v6
	v_lshlrev_b32_e32 v8, v8, v4
	v_sub_u32_e32 v7, 29, v7
	v_and_b32_e32 v8, 7, v8
	v_cmp_eq_u16_e32 vcc, 0, v6
	v_lshrrev_b16_sdwa v5, v44, v34 dst_sel:DWORD dst_unused:UNUSED_PAD src0_sel:DWORD src1_sel:WORD_1
	v_cndmask_b32_e32 v4, v4, v8, vcc
	v_cndmask_b32_e32 v6, v6, v7, vcc
	v_lshlrev_b32_e32 v4, 20, v4
	v_lshlrev_b32_e32 v5, 31, v5
	v_lshl_add_u32 v6, v6, 23, v126
	v_or3_b32 v4, v5, v6, v4
.LBB4_362:                              ;   in Loop: Header=BB4_62 Depth=1
	s_or_b64 exec, exec, s[6:7]
	v_cmp_gt_i16_sdwa s[6:7], v35, s24 src0_sel:BYTE_0 src1_sel:DWORD
	s_mov_b64 s[4:5], 0
                                        ; implicit-def: $sgpr10
	s_and_saveexec_b64 s[8:9], s[6:7]
	s_xor_b64 s[6:7], exec, s[8:9]
	s_cbranch_execnz .LBB4_1385
; %bb.363:                              ;   in Loop: Header=BB4_62 Depth=1
	s_or_saveexec_b64 s[6:7], s[6:7]
	v_mov_b32_e32 v5, s10
	s_xor_b64 exec, exec, s[6:7]
	s_cbranch_execnz .LBB4_1388
.LBB4_364:                              ;   in Loop: Header=BB4_62 Depth=1
	s_or_b64 exec, exec, s[6:7]
	s_and_saveexec_b64 s[6:7], s[4:5]
	s_cbranch_execz .LBB4_366
.LBB4_365:                              ;   in Loop: Header=BB4_62 Depth=1
	v_and_b32_e32 v5, 7, v35
	v_ffbh_u32_e32 v8, v5
	v_min_u32_e32 v8, 32, v8
	v_lshrrev_b16_e32 v7, 3, v35
	v_subrev_u32_e32 v9, 28, v8
	v_and_b32_e32 v7, 15, v7
	v_lshlrev_b32_e32 v9, v9, v5
	v_sub_u32_e32 v8, 29, v8
	v_and_b32_e32 v9, 7, v9
	v_cmp_eq_u16_e32 vcc, 0, v7
	v_lshrrev_b16_e32 v6, 7, v35
	v_cndmask_b32_e32 v5, v5, v9, vcc
	v_cndmask_b32_e32 v7, v7, v8, vcc
	v_lshlrev_b32_e32 v5, 20, v5
	v_lshlrev_b32_e32 v6, 31, v6
	v_lshl_add_u32 v7, v7, 23, v126
	v_or3_b32 v5, v6, v7, v5
.LBB4_366:                              ;   in Loop: Header=BB4_62 Depth=1
	s_or_b64 exec, exec, s[6:7]
	v_cmp_gt_i16_sdwa s[6:7], v35, s24 src0_sel:BYTE_1 src1_sel:DWORD
	s_mov_b64 s[4:5], 0
                                        ; implicit-def: $sgpr10
	s_and_saveexec_b64 s[8:9], s[6:7]
	s_xor_b64 s[6:7], exec, s[8:9]
	s_cbranch_execnz .LBB4_1389
; %bb.367:                              ;   in Loop: Header=BB4_62 Depth=1
	s_or_saveexec_b64 s[6:7], s[6:7]
	v_mov_b32_e32 v6, s10
	s_xor_b64 exec, exec, s[6:7]
	s_cbranch_execnz .LBB4_1392
.LBB4_368:                              ;   in Loop: Header=BB4_62 Depth=1
	s_or_b64 exec, exec, s[6:7]
	s_and_saveexec_b64 s[6:7], s[4:5]
	s_cbranch_execz .LBB4_370
.LBB4_369:                              ;   in Loop: Header=BB4_62 Depth=1
	v_and_b32_sdwa v6, v35, v116 dst_sel:DWORD dst_unused:UNUSED_PAD src0_sel:BYTE_1 src1_sel:DWORD
	v_ffbh_u32_e32 v9, v6
	v_min_u32_e32 v9, 32, v9
	v_lshrrev_b16_e32 v8, 11, v35
	v_subrev_u32_e32 v10, 28, v9
	v_and_b32_e32 v8, 15, v8
	v_lshlrev_b32_e32 v10, v10, v6
	v_sub_u32_e32 v9, 29, v9
	v_and_b32_e32 v10, 7, v10
	v_cmp_eq_u16_e32 vcc, 0, v8
	v_lshrrev_b16_e32 v7, 15, v35
	v_cndmask_b32_e32 v6, v6, v10, vcc
	v_cndmask_b32_e32 v8, v8, v9, vcc
	v_lshlrev_b32_e32 v6, 20, v6
	v_lshlrev_b32_e32 v7, 31, v7
	v_lshl_add_u32 v8, v8, 23, v126
	v_or3_b32 v6, v7, v8, v6
.LBB4_370:                              ;   in Loop: Header=BB4_62 Depth=1
	s_or_b64 exec, exec, s[6:7]
	v_and_b32_sdwa v8, v35, s23 dst_sel:DWORD dst_unused:UNUSED_PAD src0_sel:WORD_1 src1_sel:DWORD
	v_cmp_lt_i16_e32 vcc, s24, v8
	s_mov_b64 s[4:5], 0
                                        ; implicit-def: $sgpr10
	s_and_saveexec_b64 s[6:7], vcc
	s_xor_b64 s[6:7], exec, s[6:7]
	s_cbranch_execnz .LBB4_1393
; %bb.371:                              ;   in Loop: Header=BB4_62 Depth=1
	s_or_saveexec_b64 s[6:7], s[6:7]
	v_mov_b32_e32 v7, s10
	s_xor_b64 exec, exec, s[6:7]
	s_cbranch_execnz .LBB4_1396
.LBB4_372:                              ;   in Loop: Header=BB4_62 Depth=1
	s_or_b64 exec, exec, s[6:7]
	s_and_saveexec_b64 s[6:7], s[4:5]
	s_cbranch_execz .LBB4_374
.LBB4_373:                              ;   in Loop: Header=BB4_62 Depth=1
	v_and_b32_sdwa v7, v35, v116 dst_sel:DWORD dst_unused:UNUSED_PAD src0_sel:WORD_1 src1_sel:DWORD
	v_ffbh_u32_e32 v10, v7
	v_min_u32_e32 v10, 32, v10
	v_lshrrev_b16_sdwa v9, v117, v35 dst_sel:DWORD dst_unused:UNUSED_PAD src0_sel:DWORD src1_sel:WORD_1
	v_subrev_u32_e32 v11, 28, v10
	v_and_b32_e32 v9, 15, v9
	v_lshlrev_b32_e32 v11, v11, v7
	v_sub_u32_e32 v10, 29, v10
	v_and_b32_e32 v11, 7, v11
	v_cmp_eq_u16_e32 vcc, 0, v9
	v_lshrrev_b16_sdwa v8, v116, v35 dst_sel:DWORD dst_unused:UNUSED_PAD src0_sel:DWORD src1_sel:WORD_1
	v_cndmask_b32_e32 v7, v7, v11, vcc
	v_cndmask_b32_e32 v9, v9, v10, vcc
	v_lshlrev_b32_e32 v7, 20, v7
	v_lshlrev_b32_e32 v8, 31, v8
	v_lshl_add_u32 v9, v9, 23, v126
	v_or3_b32 v7, v8, v9, v7
.LBB4_374:                              ;   in Loop: Header=BB4_62 Depth=1
	s_or_b64 exec, exec, s[6:7]
	v_lshrrev_b16_sdwa v34, v124, v35 dst_sel:DWORD dst_unused:UNUSED_PAD src0_sel:DWORD src1_sel:WORD_1
	v_cmp_lt_i16_e32 vcc, s24, v34
	s_mov_b64 s[4:5], 0
                                        ; implicit-def: $sgpr10
	s_and_saveexec_b64 s[6:7], vcc
	s_xor_b64 s[6:7], exec, s[6:7]
	s_cbranch_execnz .LBB4_1397
; %bb.375:                              ;   in Loop: Header=BB4_62 Depth=1
	s_or_saveexec_b64 s[6:7], s[6:7]
	v_mov_b32_e32 v80, s10
	s_xor_b64 exec, exec, s[6:7]
	s_cbranch_execnz .LBB4_1400
.LBB4_376:                              ;   in Loop: Header=BB4_62 Depth=1
	s_or_b64 exec, exec, s[6:7]
	s_and_saveexec_b64 s[6:7], s[4:5]
	s_cbranch_execz .LBB4_378
.LBB4_377:                              ;   in Loop: Header=BB4_62 Depth=1
	v_and_b32_e32 v8, 7, v34
	v_ffbh_u32_e32 v11, v8
	v_min_u32_e32 v11, 32, v11
	v_lshrrev_b16_sdwa v10, v60, v35 dst_sel:DWORD dst_unused:UNUSED_PAD src0_sel:DWORD src1_sel:WORD_1
	v_subrev_u32_e32 v34, 28, v11
	v_and_b32_e32 v10, 15, v10
	v_lshlrev_b32_e32 v34, v34, v8
	v_sub_u32_e32 v11, 29, v11
	v_and_b32_e32 v34, 7, v34
	v_cmp_eq_u16_e32 vcc, 0, v10
	v_lshrrev_b16_sdwa v9, v44, v35 dst_sel:DWORD dst_unused:UNUSED_PAD src0_sel:DWORD src1_sel:WORD_1
	v_cndmask_b32_e32 v8, v8, v34, vcc
	v_cndmask_b32_e32 v10, v10, v11, vcc
	v_lshlrev_b32_e32 v8, 20, v8
	v_lshlrev_b32_e32 v9, 31, v9
	v_lshl_add_u32 v10, v10, 23, v126
	v_or3_b32 v80, v9, v10, v8
.LBB4_378:                              ;   in Loop: Header=BB4_62 Depth=1
	s_or_b64 exec, exec, s[6:7]
	v_cvt_pkrtz_f16_f32 v8, v65, v66
	v_cvt_pkrtz_f16_f32 v5, v5, v6
	;; [unrolled: 1-line block ×8, first 2 shown]
	buffer_store_dword v8, off, s[0:3], s33 offset:100
	buffer_store_dword v6, off, s[0:3], s33 offset:96
	;; [unrolled: 1-line block ×8, first 2 shown]
	flat_load_dwordx2 v[52:53], v[102:103] offset:312
	s_nop 0
	flat_load_dword v4, v[102:103] offset:328
	s_mov_b64 s[4:5], 0
                                        ; implicit-def: $sgpr10
	s_waitcnt vmcnt(0) lgkmcnt(0)
	v_sub_u32_e32 v5, v50, v53
	v_add3_u32 v4, v5, v4, 16
	v_ashrrev_i32_e32 v5, 31, v4
	v_lshrrev_b32_e32 v5, 28, v5
	v_add_u32_e32 v5, v4, v5
	v_and_b32_e32 v5, -16, v5
	v_sub_u32_e32 v6, v51, v52
	v_sub_u32_e32 v50, v4, v5
	;; [unrolled: 1-line block ×3, first 2 shown]
	v_xor_b32_e32 v4, v50, v6
	v_sub_u32_e32 v4, v4, v38
	v_lshlrev_b32_e32 v39, 8, v7
	v_lshlrev_b32_e32 v4, 4, v4
	v_add3_u32 v4, v39, v54, v4
	v_ashrrev_i32_e32 v5, 31, v4
	v_add_co_u32_e32 v4, vcc, v36, v4
	v_addc_co_u32_e32 v5, vcc, v37, v5, vcc
	flat_load_dwordx4 v[32:35], v[4:5]
	s_waitcnt vmcnt(0) lgkmcnt(0)
	v_cmp_gt_i16_sdwa s[6:7], v32, s24 src0_sel:BYTE_0 src1_sel:DWORD
	s_and_saveexec_b64 s[8:9], s[6:7]
	s_xor_b64 s[6:7], exec, s[8:9]
	s_cbranch_execnz .LBB4_1401
; %bb.379:                              ;   in Loop: Header=BB4_62 Depth=1
	s_or_saveexec_b64 s[6:7], s[6:7]
	v_mov_b32_e32 v53, s10
	s_xor_b64 exec, exec, s[6:7]
	s_cbranch_execnz .LBB4_1404
.LBB4_380:                              ;   in Loop: Header=BB4_62 Depth=1
	s_or_b64 exec, exec, s[6:7]
	s_and_saveexec_b64 s[6:7], s[4:5]
	s_cbranch_execz .LBB4_382
.LBB4_381:                              ;   in Loop: Header=BB4_62 Depth=1
	v_and_b32_e32 v4, 7, v32
	v_ffbh_u32_e32 v7, v4
	v_min_u32_e32 v7, 32, v7
	v_lshrrev_b16_e32 v6, 3, v32
	v_subrev_u32_e32 v8, 28, v7
	v_and_b32_e32 v6, 15, v6
	v_lshlrev_b32_e32 v8, v8, v4
	v_sub_u32_e32 v7, 29, v7
	v_and_b32_e32 v8, 7, v8
	v_cmp_eq_u16_e32 vcc, 0, v6
	v_lshrrev_b16_e32 v5, 7, v32
	v_cndmask_b32_e32 v4, v4, v8, vcc
	v_cndmask_b32_e32 v6, v6, v7, vcc
	v_lshlrev_b32_e32 v4, 20, v4
	v_lshlrev_b32_e32 v5, 31, v5
	v_lshl_add_u32 v6, v6, 23, v126
	v_or3_b32 v53, v5, v6, v4
.LBB4_382:                              ;   in Loop: Header=BB4_62 Depth=1
	s_or_b64 exec, exec, s[6:7]
	v_cmp_gt_i16_sdwa s[6:7], v32, s24 src0_sel:BYTE_1 src1_sel:DWORD
	s_mov_b64 s[4:5], 0
                                        ; implicit-def: $sgpr10
	s_and_saveexec_b64 s[8:9], s[6:7]
	s_xor_b64 s[6:7], exec, s[8:9]
	s_cbranch_execnz .LBB4_1405
; %bb.383:                              ;   in Loop: Header=BB4_62 Depth=1
	s_or_saveexec_b64 s[6:7], s[6:7]
	v_mov_b32_e32 v65, s10
	s_xor_b64 exec, exec, s[6:7]
	s_cbranch_execnz .LBB4_1408
.LBB4_384:                              ;   in Loop: Header=BB4_62 Depth=1
	s_or_b64 exec, exec, s[6:7]
	s_and_saveexec_b64 s[6:7], s[4:5]
	s_cbranch_execz .LBB4_386
.LBB4_385:                              ;   in Loop: Header=BB4_62 Depth=1
	v_and_b32_sdwa v4, v32, v116 dst_sel:DWORD dst_unused:UNUSED_PAD src0_sel:BYTE_1 src1_sel:DWORD
	v_ffbh_u32_e32 v7, v4
	v_min_u32_e32 v7, 32, v7
	v_lshrrev_b16_e32 v6, 11, v32
	v_subrev_u32_e32 v8, 28, v7
	v_and_b32_e32 v6, 15, v6
	v_lshlrev_b32_e32 v8, v8, v4
	v_sub_u32_e32 v7, 29, v7
	v_and_b32_e32 v8, 7, v8
	v_cmp_eq_u16_e32 vcc, 0, v6
	v_lshrrev_b16_e32 v5, 15, v32
	v_cndmask_b32_e32 v4, v4, v8, vcc
	v_cndmask_b32_e32 v6, v6, v7, vcc
	v_lshlrev_b32_e32 v4, 20, v4
	v_lshlrev_b32_e32 v5, 31, v5
	v_lshl_add_u32 v6, v6, 23, v126
	v_or3_b32 v65, v5, v6, v4
.LBB4_386:                              ;   in Loop: Header=BB4_62 Depth=1
	s_or_b64 exec, exec, s[6:7]
	v_and_b32_sdwa v4, v32, s23 dst_sel:DWORD dst_unused:UNUSED_PAD src0_sel:WORD_1 src1_sel:DWORD
	v_cmp_lt_i16_e32 vcc, s24, v4
	s_mov_b64 s[4:5], 0
                                        ; implicit-def: $sgpr10
	s_and_saveexec_b64 s[6:7], vcc
	s_xor_b64 s[6:7], exec, s[6:7]
	s_cbranch_execnz .LBB4_1409
; %bb.387:                              ;   in Loop: Header=BB4_62 Depth=1
	s_or_saveexec_b64 s[6:7], s[6:7]
	v_mov_b32_e32 v66, s10
	s_xor_b64 exec, exec, s[6:7]
	s_cbranch_execnz .LBB4_1412
.LBB4_388:                              ;   in Loop: Header=BB4_62 Depth=1
	s_or_b64 exec, exec, s[6:7]
	s_and_saveexec_b64 s[6:7], s[4:5]
	s_cbranch_execz .LBB4_390
.LBB4_389:                              ;   in Loop: Header=BB4_62 Depth=1
	v_and_b32_sdwa v4, v32, v116 dst_sel:DWORD dst_unused:UNUSED_PAD src0_sel:WORD_1 src1_sel:DWORD
	v_ffbh_u32_e32 v7, v4
	v_min_u32_e32 v7, 32, v7
	v_lshrrev_b16_sdwa v6, v117, v32 dst_sel:DWORD dst_unused:UNUSED_PAD src0_sel:DWORD src1_sel:WORD_1
	v_subrev_u32_e32 v8, 28, v7
	v_and_b32_e32 v6, 15, v6
	v_lshlrev_b32_e32 v8, v8, v4
	v_sub_u32_e32 v7, 29, v7
	v_and_b32_e32 v8, 7, v8
	v_cmp_eq_u16_e32 vcc, 0, v6
	v_lshrrev_b16_sdwa v5, v116, v32 dst_sel:DWORD dst_unused:UNUSED_PAD src0_sel:DWORD src1_sel:WORD_1
	v_cndmask_b32_e32 v4, v4, v8, vcc
	v_cndmask_b32_e32 v6, v6, v7, vcc
	v_lshlrev_b32_e32 v4, 20, v4
	v_lshlrev_b32_e32 v5, 31, v5
	v_lshl_add_u32 v6, v6, 23, v126
	v_or3_b32 v66, v5, v6, v4
.LBB4_390:                              ;   in Loop: Header=BB4_62 Depth=1
	s_or_b64 exec, exec, s[6:7]
	v_lshrrev_b16_sdwa v4, v124, v32 dst_sel:DWORD dst_unused:UNUSED_PAD src0_sel:DWORD src1_sel:WORD_1
	v_cmp_lt_i16_e32 vcc, s24, v4
	s_mov_b64 s[4:5], 0
                                        ; implicit-def: $sgpr10
	s_and_saveexec_b64 s[6:7], vcc
	s_xor_b64 s[6:7], exec, s[6:7]
	s_cbranch_execnz .LBB4_1413
; %bb.391:                              ;   in Loop: Header=BB4_62 Depth=1
	s_or_saveexec_b64 s[6:7], s[6:7]
	v_mov_b32_e32 v67, s10
	s_xor_b64 exec, exec, s[6:7]
	s_cbranch_execnz .LBB4_1416
.LBB4_392:                              ;   in Loop: Header=BB4_62 Depth=1
	s_or_b64 exec, exec, s[6:7]
	s_and_saveexec_b64 s[6:7], s[4:5]
	s_cbranch_execz .LBB4_394
.LBB4_393:                              ;   in Loop: Header=BB4_62 Depth=1
	v_and_b32_e32 v4, 7, v4
	v_ffbh_u32_e32 v7, v4
	v_min_u32_e32 v7, 32, v7
	v_lshrrev_b16_sdwa v6, v60, v32 dst_sel:DWORD dst_unused:UNUSED_PAD src0_sel:DWORD src1_sel:WORD_1
	v_subrev_u32_e32 v8, 28, v7
	v_and_b32_e32 v6, 15, v6
	v_lshlrev_b32_e32 v8, v8, v4
	v_sub_u32_e32 v7, 29, v7
	v_and_b32_e32 v8, 7, v8
	v_cmp_eq_u16_e32 vcc, 0, v6
	v_lshrrev_b16_sdwa v5, v44, v32 dst_sel:DWORD dst_unused:UNUSED_PAD src0_sel:DWORD src1_sel:WORD_1
	v_cndmask_b32_e32 v4, v4, v8, vcc
	v_cndmask_b32_e32 v6, v6, v7, vcc
	v_lshlrev_b32_e32 v4, 20, v4
	v_lshlrev_b32_e32 v5, 31, v5
	v_lshl_add_u32 v6, v6, 23, v126
	v_or3_b32 v67, v5, v6, v4
.LBB4_394:                              ;   in Loop: Header=BB4_62 Depth=1
	s_or_b64 exec, exec, s[6:7]
	v_cmp_gt_i16_sdwa s[6:7], v33, s24 src0_sel:BYTE_0 src1_sel:DWORD
	s_mov_b64 s[4:5], 0
                                        ; implicit-def: $sgpr10
	s_and_saveexec_b64 s[8:9], s[6:7]
	s_xor_b64 s[6:7], exec, s[8:9]
	s_cbranch_execnz .LBB4_1417
; %bb.395:                              ;   in Loop: Header=BB4_62 Depth=1
	s_or_saveexec_b64 s[6:7], s[6:7]
	v_mov_b32_e32 v32, s10
	s_xor_b64 exec, exec, s[6:7]
	s_cbranch_execnz .LBB4_1420
.LBB4_396:                              ;   in Loop: Header=BB4_62 Depth=1
	s_or_b64 exec, exec, s[6:7]
	s_and_saveexec_b64 s[6:7], s[4:5]
	s_cbranch_execz .LBB4_398
.LBB4_397:                              ;   in Loop: Header=BB4_62 Depth=1
	v_and_b32_e32 v4, 7, v33
	v_ffbh_u32_e32 v7, v4
	v_min_u32_e32 v7, 32, v7
	v_lshrrev_b16_e32 v6, 3, v33
	v_subrev_u32_e32 v8, 28, v7
	v_and_b32_e32 v6, 15, v6
	v_lshlrev_b32_e32 v8, v8, v4
	v_sub_u32_e32 v7, 29, v7
	v_and_b32_e32 v8, 7, v8
	v_cmp_eq_u16_e32 vcc, 0, v6
	v_lshrrev_b16_e32 v5, 7, v33
	v_cndmask_b32_e32 v4, v4, v8, vcc
	v_cndmask_b32_e32 v6, v6, v7, vcc
	v_lshlrev_b32_e32 v4, 20, v4
	v_lshlrev_b32_e32 v5, 31, v5
	v_lshl_add_u32 v6, v6, 23, v126
	v_or3_b32 v32, v5, v6, v4
.LBB4_398:                              ;   in Loop: Header=BB4_62 Depth=1
	s_or_b64 exec, exec, s[6:7]
	v_cmp_gt_i16_sdwa s[6:7], v33, s24 src0_sel:BYTE_1 src1_sel:DWORD
	s_mov_b64 s[4:5], 0
                                        ; implicit-def: $sgpr10
	s_and_saveexec_b64 s[8:9], s[6:7]
	s_xor_b64 s[6:7], exec, s[8:9]
	s_cbranch_execnz .LBB4_1421
; %bb.399:                              ;   in Loop: Header=BB4_62 Depth=1
	s_or_saveexec_b64 s[6:7], s[6:7]
	v_mov_b32_e32 v68, s10
	s_xor_b64 exec, exec, s[6:7]
	s_cbranch_execnz .LBB4_1424
.LBB4_400:                              ;   in Loop: Header=BB4_62 Depth=1
	s_or_b64 exec, exec, s[6:7]
	s_and_saveexec_b64 s[6:7], s[4:5]
	s_cbranch_execz .LBB4_402
.LBB4_401:                              ;   in Loop: Header=BB4_62 Depth=1
	v_and_b32_sdwa v4, v33, v116 dst_sel:DWORD dst_unused:UNUSED_PAD src0_sel:BYTE_1 src1_sel:DWORD
	v_ffbh_u32_e32 v7, v4
	v_min_u32_e32 v7, 32, v7
	v_lshrrev_b16_e32 v6, 11, v33
	v_subrev_u32_e32 v8, 28, v7
	v_and_b32_e32 v6, 15, v6
	v_lshlrev_b32_e32 v8, v8, v4
	v_sub_u32_e32 v7, 29, v7
	v_and_b32_e32 v8, 7, v8
	v_cmp_eq_u16_e32 vcc, 0, v6
	v_lshrrev_b16_e32 v5, 15, v33
	v_cndmask_b32_e32 v4, v4, v8, vcc
	v_cndmask_b32_e32 v6, v6, v7, vcc
	v_lshlrev_b32_e32 v4, 20, v4
	v_lshlrev_b32_e32 v5, 31, v5
	v_lshl_add_u32 v6, v6, 23, v126
	v_or3_b32 v68, v5, v6, v4
.LBB4_402:                              ;   in Loop: Header=BB4_62 Depth=1
	s_or_b64 exec, exec, s[6:7]
	v_and_b32_sdwa v4, v33, s23 dst_sel:DWORD dst_unused:UNUSED_PAD src0_sel:WORD_1 src1_sel:DWORD
	v_cmp_lt_i16_e32 vcc, s24, v4
	s_mov_b64 s[4:5], 0
                                        ; implicit-def: $sgpr10
	s_and_saveexec_b64 s[6:7], vcc
	s_xor_b64 s[6:7], exec, s[6:7]
	s_cbranch_execnz .LBB4_1425
; %bb.403:                              ;   in Loop: Header=BB4_62 Depth=1
	s_or_saveexec_b64 s[6:7], s[6:7]
	v_mov_b32_e32 v69, s10
	s_xor_b64 exec, exec, s[6:7]
	s_cbranch_execnz .LBB4_1428
.LBB4_404:                              ;   in Loop: Header=BB4_62 Depth=1
	s_or_b64 exec, exec, s[6:7]
	s_and_saveexec_b64 s[6:7], s[4:5]
	s_cbranch_execz .LBB4_406
.LBB4_405:                              ;   in Loop: Header=BB4_62 Depth=1
	v_and_b32_sdwa v4, v33, v116 dst_sel:DWORD dst_unused:UNUSED_PAD src0_sel:WORD_1 src1_sel:DWORD
	v_ffbh_u32_e32 v7, v4
	v_min_u32_e32 v7, 32, v7
	v_lshrrev_b16_sdwa v6, v117, v33 dst_sel:DWORD dst_unused:UNUSED_PAD src0_sel:DWORD src1_sel:WORD_1
	v_subrev_u32_e32 v8, 28, v7
	v_and_b32_e32 v6, 15, v6
	v_lshlrev_b32_e32 v8, v8, v4
	v_sub_u32_e32 v7, 29, v7
	v_and_b32_e32 v8, 7, v8
	v_cmp_eq_u16_e32 vcc, 0, v6
	v_lshrrev_b16_sdwa v5, v116, v33 dst_sel:DWORD dst_unused:UNUSED_PAD src0_sel:DWORD src1_sel:WORD_1
	v_cndmask_b32_e32 v4, v4, v8, vcc
	v_cndmask_b32_e32 v6, v6, v7, vcc
	v_lshlrev_b32_e32 v4, 20, v4
	v_lshlrev_b32_e32 v5, 31, v5
	v_lshl_add_u32 v6, v6, 23, v126
	v_or3_b32 v69, v5, v6, v4
.LBB4_406:                              ;   in Loop: Header=BB4_62 Depth=1
	s_or_b64 exec, exec, s[6:7]
	v_lshrrev_b16_sdwa v4, v124, v33 dst_sel:DWORD dst_unused:UNUSED_PAD src0_sel:DWORD src1_sel:WORD_1
	v_cmp_lt_i16_e32 vcc, s24, v4
	s_mov_b64 s[4:5], 0
                                        ; implicit-def: $sgpr10
	s_and_saveexec_b64 s[6:7], vcc
	s_xor_b64 s[6:7], exec, s[6:7]
	s_cbranch_execnz .LBB4_1429
; %bb.407:                              ;   in Loop: Header=BB4_62 Depth=1
	s_or_saveexec_b64 s[6:7], s[6:7]
	v_mov_b32_e32 v70, s10
	s_xor_b64 exec, exec, s[6:7]
	s_cbranch_execnz .LBB4_1432
.LBB4_408:                              ;   in Loop: Header=BB4_62 Depth=1
	s_or_b64 exec, exec, s[6:7]
	s_and_saveexec_b64 s[6:7], s[4:5]
	s_cbranch_execz .LBB4_410
.LBB4_409:                              ;   in Loop: Header=BB4_62 Depth=1
	v_and_b32_e32 v4, 7, v4
	v_ffbh_u32_e32 v7, v4
	v_min_u32_e32 v7, 32, v7
	v_lshrrev_b16_sdwa v6, v60, v33 dst_sel:DWORD dst_unused:UNUSED_PAD src0_sel:DWORD src1_sel:WORD_1
	v_subrev_u32_e32 v8, 28, v7
	v_and_b32_e32 v6, 15, v6
	v_lshlrev_b32_e32 v8, v8, v4
	v_sub_u32_e32 v7, 29, v7
	v_and_b32_e32 v8, 7, v8
	v_cmp_eq_u16_e32 vcc, 0, v6
	v_lshrrev_b16_sdwa v5, v44, v33 dst_sel:DWORD dst_unused:UNUSED_PAD src0_sel:DWORD src1_sel:WORD_1
	v_cndmask_b32_e32 v4, v4, v8, vcc
	v_cndmask_b32_e32 v6, v6, v7, vcc
	v_lshlrev_b32_e32 v4, 20, v4
	v_lshlrev_b32_e32 v5, 31, v5
	v_lshl_add_u32 v6, v6, 23, v126
	v_or3_b32 v70, v5, v6, v4
.LBB4_410:                              ;   in Loop: Header=BB4_62 Depth=1
	s_or_b64 exec, exec, s[6:7]
	v_cmp_gt_i16_sdwa s[6:7], v34, s24 src0_sel:BYTE_0 src1_sel:DWORD
	s_mov_b64 s[4:5], 0
                                        ; implicit-def: $sgpr10
	s_and_saveexec_b64 s[8:9], s[6:7]
	s_xor_b64 s[6:7], exec, s[8:9]
	s_cbranch_execnz .LBB4_1433
; %bb.411:                              ;   in Loop: Header=BB4_62 Depth=1
	s_or_saveexec_b64 s[6:7], s[6:7]
	v_mov_b32_e32 v33, s10
	s_xor_b64 exec, exec, s[6:7]
	s_cbranch_execnz .LBB4_1436
.LBB4_412:                              ;   in Loop: Header=BB4_62 Depth=1
	s_or_b64 exec, exec, s[6:7]
	s_and_saveexec_b64 s[6:7], s[4:5]
	s_cbranch_execz .LBB4_414
.LBB4_413:                              ;   in Loop: Header=BB4_62 Depth=1
	v_and_b32_e32 v4, 7, v34
	v_ffbh_u32_e32 v7, v4
	v_min_u32_e32 v7, 32, v7
	v_lshrrev_b16_e32 v6, 3, v34
	v_subrev_u32_e32 v8, 28, v7
	v_and_b32_e32 v6, 15, v6
	v_lshlrev_b32_e32 v8, v8, v4
	v_sub_u32_e32 v7, 29, v7
	v_and_b32_e32 v8, 7, v8
	v_cmp_eq_u16_e32 vcc, 0, v6
	v_lshrrev_b16_e32 v5, 7, v34
	v_cndmask_b32_e32 v4, v4, v8, vcc
	v_cndmask_b32_e32 v6, v6, v7, vcc
	v_lshlrev_b32_e32 v4, 20, v4
	v_lshlrev_b32_e32 v5, 31, v5
	v_lshl_add_u32 v6, v6, 23, v126
	v_or3_b32 v33, v5, v6, v4
.LBB4_414:                              ;   in Loop: Header=BB4_62 Depth=1
	s_or_b64 exec, exec, s[6:7]
	v_cmp_gt_i16_sdwa s[6:7], v34, s24 src0_sel:BYTE_1 src1_sel:DWORD
	s_mov_b64 s[4:5], 0
                                        ; implicit-def: $sgpr10
	s_and_saveexec_b64 s[8:9], s[6:7]
	s_xor_b64 s[6:7], exec, s[8:9]
	s_cbranch_execnz .LBB4_1437
; %bb.415:                              ;   in Loop: Header=BB4_62 Depth=1
	s_or_saveexec_b64 s[6:7], s[6:7]
	v_mov_b32_e32 v71, s10
	s_xor_b64 exec, exec, s[6:7]
	s_cbranch_execnz .LBB4_1440
.LBB4_416:                              ;   in Loop: Header=BB4_62 Depth=1
	s_or_b64 exec, exec, s[6:7]
	s_and_saveexec_b64 s[6:7], s[4:5]
	s_cbranch_execz .LBB4_418
.LBB4_417:                              ;   in Loop: Header=BB4_62 Depth=1
	v_and_b32_sdwa v4, v34, v116 dst_sel:DWORD dst_unused:UNUSED_PAD src0_sel:BYTE_1 src1_sel:DWORD
	v_ffbh_u32_e32 v7, v4
	v_min_u32_e32 v7, 32, v7
	v_lshrrev_b16_e32 v6, 11, v34
	v_subrev_u32_e32 v8, 28, v7
	v_and_b32_e32 v6, 15, v6
	v_lshlrev_b32_e32 v8, v8, v4
	v_sub_u32_e32 v7, 29, v7
	v_and_b32_e32 v8, 7, v8
	v_cmp_eq_u16_e32 vcc, 0, v6
	v_lshrrev_b16_e32 v5, 15, v34
	v_cndmask_b32_e32 v4, v4, v8, vcc
	v_cndmask_b32_e32 v6, v6, v7, vcc
	v_lshlrev_b32_e32 v4, 20, v4
	v_lshlrev_b32_e32 v5, 31, v5
	v_lshl_add_u32 v6, v6, 23, v126
	v_or3_b32 v71, v5, v6, v4
.LBB4_418:                              ;   in Loop: Header=BB4_62 Depth=1
	s_or_b64 exec, exec, s[6:7]
	v_and_b32_sdwa v4, v34, s23 dst_sel:DWORD dst_unused:UNUSED_PAD src0_sel:WORD_1 src1_sel:DWORD
	v_cmp_lt_i16_e32 vcc, s24, v4
	s_mov_b64 s[4:5], 0
                                        ; implicit-def: $sgpr10
	s_and_saveexec_b64 s[6:7], vcc
	s_xor_b64 s[6:7], exec, s[6:7]
	s_cbranch_execnz .LBB4_1441
; %bb.419:                              ;   in Loop: Header=BB4_62 Depth=1
	s_or_saveexec_b64 s[6:7], s[6:7]
	v_mov_b32_e32 v80, s10
	s_xor_b64 exec, exec, s[6:7]
	s_cbranch_execnz .LBB4_1444
.LBB4_420:                              ;   in Loop: Header=BB4_62 Depth=1
	s_or_b64 exec, exec, s[6:7]
	s_and_saveexec_b64 s[6:7], s[4:5]
	s_cbranch_execz .LBB4_422
.LBB4_421:                              ;   in Loop: Header=BB4_62 Depth=1
	v_and_b32_sdwa v4, v34, v116 dst_sel:DWORD dst_unused:UNUSED_PAD src0_sel:WORD_1 src1_sel:DWORD
	v_ffbh_u32_e32 v7, v4
	v_min_u32_e32 v7, 32, v7
	v_lshrrev_b16_sdwa v6, v117, v34 dst_sel:DWORD dst_unused:UNUSED_PAD src0_sel:DWORD src1_sel:WORD_1
	v_subrev_u32_e32 v8, 28, v7
	v_and_b32_e32 v6, 15, v6
	v_lshlrev_b32_e32 v8, v8, v4
	v_sub_u32_e32 v7, 29, v7
	v_and_b32_e32 v8, 7, v8
	v_cmp_eq_u16_e32 vcc, 0, v6
	v_lshrrev_b16_sdwa v5, v116, v34 dst_sel:DWORD dst_unused:UNUSED_PAD src0_sel:DWORD src1_sel:WORD_1
	v_cndmask_b32_e32 v4, v4, v8, vcc
	v_cndmask_b32_e32 v6, v6, v7, vcc
	v_lshlrev_b32_e32 v4, 20, v4
	v_lshlrev_b32_e32 v5, 31, v5
	v_lshl_add_u32 v6, v6, 23, v126
	v_or3_b32 v80, v5, v6, v4
.LBB4_422:                              ;   in Loop: Header=BB4_62 Depth=1
	s_or_b64 exec, exec, s[6:7]
	v_lshrrev_b16_sdwa v5, v124, v34 dst_sel:DWORD dst_unused:UNUSED_PAD src0_sel:DWORD src1_sel:WORD_1
	v_cmp_lt_i16_e32 vcc, s24, v5
	s_mov_b64 s[4:5], 0
                                        ; implicit-def: $sgpr10
	s_and_saveexec_b64 s[6:7], vcc
	s_xor_b64 s[6:7], exec, s[6:7]
	s_cbranch_execnz .LBB4_1445
; %bb.423:                              ;   in Loop: Header=BB4_62 Depth=1
	s_or_saveexec_b64 s[6:7], s[6:7]
	v_mov_b32_e32 v4, s10
	s_xor_b64 exec, exec, s[6:7]
	s_cbranch_execnz .LBB4_1448
.LBB4_424:                              ;   in Loop: Header=BB4_62 Depth=1
	s_or_b64 exec, exec, s[6:7]
	s_and_saveexec_b64 s[6:7], s[4:5]
	s_cbranch_execz .LBB4_426
.LBB4_425:                              ;   in Loop: Header=BB4_62 Depth=1
	v_and_b32_e32 v4, 7, v5
	v_ffbh_u32_e32 v7, v4
	v_min_u32_e32 v7, 32, v7
	v_lshrrev_b16_sdwa v6, v60, v34 dst_sel:DWORD dst_unused:UNUSED_PAD src0_sel:DWORD src1_sel:WORD_1
	v_subrev_u32_e32 v8, 28, v7
	v_and_b32_e32 v6, 15, v6
	v_lshlrev_b32_e32 v8, v8, v4
	v_sub_u32_e32 v7, 29, v7
	v_and_b32_e32 v8, 7, v8
	v_cmp_eq_u16_e32 vcc, 0, v6
	v_lshrrev_b16_sdwa v5, v44, v34 dst_sel:DWORD dst_unused:UNUSED_PAD src0_sel:DWORD src1_sel:WORD_1
	v_cndmask_b32_e32 v4, v4, v8, vcc
	v_cndmask_b32_e32 v6, v6, v7, vcc
	v_lshlrev_b32_e32 v4, 20, v4
	v_lshlrev_b32_e32 v5, 31, v5
	v_lshl_add_u32 v6, v6, 23, v126
	v_or3_b32 v4, v5, v6, v4
.LBB4_426:                              ;   in Loop: Header=BB4_62 Depth=1
	s_or_b64 exec, exec, s[6:7]
	v_cmp_gt_i16_sdwa s[6:7], v35, s24 src0_sel:BYTE_0 src1_sel:DWORD
	s_mov_b64 s[4:5], 0
                                        ; implicit-def: $sgpr10
	s_and_saveexec_b64 s[8:9], s[6:7]
	s_xor_b64 s[6:7], exec, s[8:9]
	s_cbranch_execnz .LBB4_1449
; %bb.427:                              ;   in Loop: Header=BB4_62 Depth=1
	s_or_saveexec_b64 s[6:7], s[6:7]
	v_mov_b32_e32 v5, s10
	s_xor_b64 exec, exec, s[6:7]
	s_cbranch_execnz .LBB4_1452
.LBB4_428:                              ;   in Loop: Header=BB4_62 Depth=1
	s_or_b64 exec, exec, s[6:7]
	s_and_saveexec_b64 s[6:7], s[4:5]
	s_cbranch_execz .LBB4_430
.LBB4_429:                              ;   in Loop: Header=BB4_62 Depth=1
	v_and_b32_e32 v5, 7, v35
	v_ffbh_u32_e32 v8, v5
	v_min_u32_e32 v8, 32, v8
	v_lshrrev_b16_e32 v7, 3, v35
	v_subrev_u32_e32 v9, 28, v8
	v_and_b32_e32 v7, 15, v7
	v_lshlrev_b32_e32 v9, v9, v5
	v_sub_u32_e32 v8, 29, v8
	v_and_b32_e32 v9, 7, v9
	v_cmp_eq_u16_e32 vcc, 0, v7
	v_lshrrev_b16_e32 v6, 7, v35
	v_cndmask_b32_e32 v5, v5, v9, vcc
	v_cndmask_b32_e32 v7, v7, v8, vcc
	v_lshlrev_b32_e32 v5, 20, v5
	v_lshlrev_b32_e32 v6, 31, v6
	v_lshl_add_u32 v7, v7, 23, v126
	v_or3_b32 v5, v6, v7, v5
.LBB4_430:                              ;   in Loop: Header=BB4_62 Depth=1
	s_or_b64 exec, exec, s[6:7]
	v_cmp_gt_i16_sdwa s[6:7], v35, s24 src0_sel:BYTE_1 src1_sel:DWORD
	s_mov_b64 s[4:5], 0
                                        ; implicit-def: $sgpr10
	s_and_saveexec_b64 s[8:9], s[6:7]
	s_xor_b64 s[6:7], exec, s[8:9]
	s_cbranch_execnz .LBB4_1453
; %bb.431:                              ;   in Loop: Header=BB4_62 Depth=1
	s_or_saveexec_b64 s[6:7], s[6:7]
	v_mov_b32_e32 v6, s10
	s_xor_b64 exec, exec, s[6:7]
	s_cbranch_execnz .LBB4_1456
.LBB4_432:                              ;   in Loop: Header=BB4_62 Depth=1
	s_or_b64 exec, exec, s[6:7]
	s_and_saveexec_b64 s[6:7], s[4:5]
	s_cbranch_execz .LBB4_434
.LBB4_433:                              ;   in Loop: Header=BB4_62 Depth=1
	v_and_b32_sdwa v6, v35, v116 dst_sel:DWORD dst_unused:UNUSED_PAD src0_sel:BYTE_1 src1_sel:DWORD
	v_ffbh_u32_e32 v9, v6
	v_min_u32_e32 v9, 32, v9
	v_lshrrev_b16_e32 v8, 11, v35
	v_subrev_u32_e32 v10, 28, v9
	v_and_b32_e32 v8, 15, v8
	v_lshlrev_b32_e32 v10, v10, v6
	v_sub_u32_e32 v9, 29, v9
	v_and_b32_e32 v10, 7, v10
	v_cmp_eq_u16_e32 vcc, 0, v8
	v_lshrrev_b16_e32 v7, 15, v35
	v_cndmask_b32_e32 v6, v6, v10, vcc
	v_cndmask_b32_e32 v8, v8, v9, vcc
	v_lshlrev_b32_e32 v6, 20, v6
	v_lshlrev_b32_e32 v7, 31, v7
	v_lshl_add_u32 v8, v8, 23, v126
	v_or3_b32 v6, v7, v8, v6
.LBB4_434:                              ;   in Loop: Header=BB4_62 Depth=1
	s_or_b64 exec, exec, s[6:7]
	v_and_b32_sdwa v8, v35, s23 dst_sel:DWORD dst_unused:UNUSED_PAD src0_sel:WORD_1 src1_sel:DWORD
	v_cmp_lt_i16_e32 vcc, s24, v8
	s_mov_b64 s[4:5], 0
                                        ; implicit-def: $sgpr10
	s_and_saveexec_b64 s[6:7], vcc
	s_xor_b64 s[6:7], exec, s[6:7]
	s_cbranch_execnz .LBB4_1457
; %bb.435:                              ;   in Loop: Header=BB4_62 Depth=1
	s_or_saveexec_b64 s[6:7], s[6:7]
	v_mov_b32_e32 v7, s10
	s_xor_b64 exec, exec, s[6:7]
	s_cbranch_execnz .LBB4_1460
.LBB4_436:                              ;   in Loop: Header=BB4_62 Depth=1
	s_or_b64 exec, exec, s[6:7]
	s_and_saveexec_b64 s[6:7], s[4:5]
	s_cbranch_execz .LBB4_438
.LBB4_437:                              ;   in Loop: Header=BB4_62 Depth=1
	v_and_b32_sdwa v7, v35, v116 dst_sel:DWORD dst_unused:UNUSED_PAD src0_sel:WORD_1 src1_sel:DWORD
	v_ffbh_u32_e32 v10, v7
	v_min_u32_e32 v10, 32, v10
	v_lshrrev_b16_sdwa v9, v117, v35 dst_sel:DWORD dst_unused:UNUSED_PAD src0_sel:DWORD src1_sel:WORD_1
	v_subrev_u32_e32 v11, 28, v10
	v_and_b32_e32 v9, 15, v9
	v_lshlrev_b32_e32 v11, v11, v7
	v_sub_u32_e32 v10, 29, v10
	v_and_b32_e32 v11, 7, v11
	v_cmp_eq_u16_e32 vcc, 0, v9
	v_lshrrev_b16_sdwa v8, v116, v35 dst_sel:DWORD dst_unused:UNUSED_PAD src0_sel:DWORD src1_sel:WORD_1
	v_cndmask_b32_e32 v7, v7, v11, vcc
	v_cndmask_b32_e32 v9, v9, v10, vcc
	v_lshlrev_b32_e32 v7, 20, v7
	v_lshlrev_b32_e32 v8, 31, v8
	v_lshl_add_u32 v9, v9, 23, v126
	v_or3_b32 v7, v8, v9, v7
.LBB4_438:                              ;   in Loop: Header=BB4_62 Depth=1
	s_or_b64 exec, exec, s[6:7]
	v_lshrrev_b16_sdwa v34, v124, v35 dst_sel:DWORD dst_unused:UNUSED_PAD src0_sel:DWORD src1_sel:WORD_1
	v_cmp_lt_i16_e32 vcc, s24, v34
	s_mov_b64 s[4:5], 0
                                        ; implicit-def: $sgpr10
	s_and_saveexec_b64 s[6:7], vcc
	s_xor_b64 s[6:7], exec, s[6:7]
	s_cbranch_execnz .LBB4_1461
; %bb.439:                              ;   in Loop: Header=BB4_62 Depth=1
	s_or_saveexec_b64 s[6:7], s[6:7]
	v_mov_b32_e32 v81, s10
	s_xor_b64 exec, exec, s[6:7]
	s_cbranch_execnz .LBB4_1464
.LBB4_440:                              ;   in Loop: Header=BB4_62 Depth=1
	s_or_b64 exec, exec, s[6:7]
	s_and_saveexec_b64 s[6:7], s[4:5]
	s_cbranch_execz .LBB4_442
.LBB4_441:                              ;   in Loop: Header=BB4_62 Depth=1
	v_and_b32_e32 v8, 7, v34
	v_ffbh_u32_e32 v11, v8
	v_min_u32_e32 v11, 32, v11
	v_lshrrev_b16_sdwa v10, v60, v35 dst_sel:DWORD dst_unused:UNUSED_PAD src0_sel:DWORD src1_sel:WORD_1
	v_subrev_u32_e32 v34, 28, v11
	v_and_b32_e32 v10, 15, v10
	v_lshlrev_b32_e32 v34, v34, v8
	v_sub_u32_e32 v11, 29, v11
	v_and_b32_e32 v34, 7, v34
	v_cmp_eq_u16_e32 vcc, 0, v10
	v_lshrrev_b16_sdwa v9, v44, v35 dst_sel:DWORD dst_unused:UNUSED_PAD src0_sel:DWORD src1_sel:WORD_1
	v_cndmask_b32_e32 v8, v8, v34, vcc
	v_cndmask_b32_e32 v10, v10, v11, vcc
	v_lshlrev_b32_e32 v8, 20, v8
	v_lshlrev_b32_e32 v9, 31, v9
	v_lshl_add_u32 v10, v10, 23, v126
	v_or3_b32 v81, v9, v10, v8
.LBB4_442:                              ;   in Loop: Header=BB4_62 Depth=1
	s_or_b64 exec, exec, s[6:7]
	v_cvt_pkrtz_f16_f32 v8, v66, v67
	v_cvt_pkrtz_f16_f32 v4, v80, v4
	v_cvt_pkrtz_f16_f32 v5, v5, v6
	v_cvt_pkrtz_f16_f32 v6, v53, v65
	v_cvt_pkrtz_f16_f32 v9, v32, v68
	v_cvt_pkrtz_f16_f32 v10, v69, v70
	v_cvt_pkrtz_f16_f32 v11, v33, v71
	v_cvt_pkrtz_f16_f32 v7, v7, v81
	buffer_store_dword v8, off, s[0:3], s33 offset:132
	buffer_store_dword v6, off, s[0:3], s33 offset:128
	;; [unrolled: 1-line block ×8, first 2 shown]
	v_add_u32_e32 v4, v55, v52
	v_sub_u32_e32 v51, v51, v4
	v_add_u32_e32 v1, v51, v1
	v_xor_b32_e32 v1, v50, v1
	v_sub_u32_e32 v1, v1, v38
	v_lshlrev_b32_e32 v4, 4, v1
	v_sub_u32_e32 v1, v54, v48
	v_add_u32_e32 v1, v39, v1
	v_add3_u32 v0, v1, v0, v4
	v_ashrrev_i32_e32 v5, 31, v0
	v_add_co_u32_e32 v4, vcc, v36, v0
	v_addc_co_u32_e32 v5, vcc, v37, v5, vcc
	flat_load_dwordx4 v[32:35], v[4:5]
	s_mov_b64 s[4:5], 0
                                        ; implicit-def: $sgpr10
	s_waitcnt vmcnt(0) lgkmcnt(0)
	v_cmp_gt_i16_sdwa s[6:7], v32, s24 src0_sel:BYTE_0 src1_sel:DWORD
	s_and_saveexec_b64 s[8:9], s[6:7]
	s_xor_b64 s[6:7], exec, s[8:9]
	s_cbranch_execnz .LBB4_1465
; %bb.443:                              ;   in Loop: Header=BB4_62 Depth=1
	s_or_saveexec_b64 s[6:7], s[6:7]
	v_mov_b32_e32 v0, s10
	s_xor_b64 exec, exec, s[6:7]
	s_cbranch_execnz .LBB4_1468
.LBB4_444:                              ;   in Loop: Header=BB4_62 Depth=1
	s_or_b64 exec, exec, s[6:7]
	s_and_saveexec_b64 s[6:7], s[4:5]
	s_cbranch_execz .LBB4_446
.LBB4_445:                              ;   in Loop: Header=BB4_62 Depth=1
	v_and_b32_e32 v0, 7, v32
	v_ffbh_u32_e32 v6, v0
	v_min_u32_e32 v6, 32, v6
	v_lshrrev_b16_e32 v5, 3, v32
	v_subrev_u32_e32 v7, 28, v6
	v_and_b32_e32 v5, 15, v5
	v_lshlrev_b32_e32 v7, v7, v0
	v_sub_u32_e32 v6, 29, v6
	v_and_b32_e32 v7, 7, v7
	v_cmp_eq_u16_e32 vcc, 0, v5
	v_lshrrev_b16_e32 v4, 7, v32
	v_cndmask_b32_e32 v0, v0, v7, vcc
	v_cndmask_b32_e32 v5, v5, v6, vcc
	v_lshlrev_b32_e32 v0, 20, v0
	v_lshlrev_b32_e32 v4, 31, v4
	v_lshl_add_u32 v5, v5, 23, v126
	v_or3_b32 v0, v4, v5, v0
.LBB4_446:                              ;   in Loop: Header=BB4_62 Depth=1
	s_or_b64 exec, exec, s[6:7]
	v_cmp_gt_i16_sdwa s[6:7], v32, s24 src0_sel:BYTE_1 src1_sel:DWORD
	s_mov_b64 s[4:5], 0
                                        ; implicit-def: $sgpr10
	s_and_saveexec_b64 s[8:9], s[6:7]
	s_xor_b64 s[6:7], exec, s[8:9]
	s_cbranch_execnz .LBB4_1469
; %bb.447:                              ;   in Loop: Header=BB4_62 Depth=1
	s_or_saveexec_b64 s[6:7], s[6:7]
	v_mov_b32_e32 v52, s10
	s_xor_b64 exec, exec, s[6:7]
	s_cbranch_execnz .LBB4_1472
.LBB4_448:                              ;   in Loop: Header=BB4_62 Depth=1
	s_or_b64 exec, exec, s[6:7]
	s_and_saveexec_b64 s[6:7], s[4:5]
	s_cbranch_execz .LBB4_450
.LBB4_449:                              ;   in Loop: Header=BB4_62 Depth=1
	v_and_b32_sdwa v4, v32, v116 dst_sel:DWORD dst_unused:UNUSED_PAD src0_sel:BYTE_1 src1_sel:DWORD
	v_ffbh_u32_e32 v7, v4
	v_min_u32_e32 v7, 32, v7
	v_lshrrev_b16_e32 v6, 11, v32
	v_subrev_u32_e32 v8, 28, v7
	v_and_b32_e32 v6, 15, v6
	v_lshlrev_b32_e32 v8, v8, v4
	v_sub_u32_e32 v7, 29, v7
	v_and_b32_e32 v8, 7, v8
	v_cmp_eq_u16_e32 vcc, 0, v6
	v_lshrrev_b16_e32 v5, 15, v32
	v_cndmask_b32_e32 v4, v4, v8, vcc
	v_cndmask_b32_e32 v6, v6, v7, vcc
	v_lshlrev_b32_e32 v4, 20, v4
	v_lshlrev_b32_e32 v5, 31, v5
	v_lshl_add_u32 v6, v6, 23, v126
	v_or3_b32 v52, v5, v6, v4
.LBB4_450:                              ;   in Loop: Header=BB4_62 Depth=1
	s_or_b64 exec, exec, s[6:7]
	v_and_b32_sdwa v4, v32, s23 dst_sel:DWORD dst_unused:UNUSED_PAD src0_sel:WORD_1 src1_sel:DWORD
	v_cmp_lt_i16_e32 vcc, s24, v4
	s_mov_b64 s[4:5], 0
                                        ; implicit-def: $sgpr10
	s_and_saveexec_b64 s[6:7], vcc
	s_xor_b64 s[6:7], exec, s[6:7]
	s_cbranch_execnz .LBB4_1473
; %bb.451:                              ;   in Loop: Header=BB4_62 Depth=1
	s_or_saveexec_b64 s[6:7], s[6:7]
	v_mov_b32_e32 v53, s10
	s_xor_b64 exec, exec, s[6:7]
	s_cbranch_execnz .LBB4_1476
.LBB4_452:                              ;   in Loop: Header=BB4_62 Depth=1
	s_or_b64 exec, exec, s[6:7]
	s_and_saveexec_b64 s[6:7], s[4:5]
	s_cbranch_execz .LBB4_454
.LBB4_453:                              ;   in Loop: Header=BB4_62 Depth=1
	v_and_b32_sdwa v4, v32, v116 dst_sel:DWORD dst_unused:UNUSED_PAD src0_sel:WORD_1 src1_sel:DWORD
	v_ffbh_u32_e32 v7, v4
	v_min_u32_e32 v7, 32, v7
	v_lshrrev_b16_sdwa v6, v117, v32 dst_sel:DWORD dst_unused:UNUSED_PAD src0_sel:DWORD src1_sel:WORD_1
	v_subrev_u32_e32 v8, 28, v7
	v_and_b32_e32 v6, 15, v6
	v_lshlrev_b32_e32 v8, v8, v4
	v_sub_u32_e32 v7, 29, v7
	v_and_b32_e32 v8, 7, v8
	v_cmp_eq_u16_e32 vcc, 0, v6
	v_lshrrev_b16_sdwa v5, v116, v32 dst_sel:DWORD dst_unused:UNUSED_PAD src0_sel:DWORD src1_sel:WORD_1
	v_cndmask_b32_e32 v4, v4, v8, vcc
	v_cndmask_b32_e32 v6, v6, v7, vcc
	v_lshlrev_b32_e32 v4, 20, v4
	v_lshlrev_b32_e32 v5, 31, v5
	v_lshl_add_u32 v6, v6, 23, v126
	v_or3_b32 v53, v5, v6, v4
.LBB4_454:                              ;   in Loop: Header=BB4_62 Depth=1
	s_or_b64 exec, exec, s[6:7]
	v_lshrrev_b16_sdwa v4, v124, v32 dst_sel:DWORD dst_unused:UNUSED_PAD src0_sel:DWORD src1_sel:WORD_1
	v_cmp_lt_i16_e32 vcc, s24, v4
	s_mov_b64 s[4:5], 0
                                        ; implicit-def: $sgpr10
	s_and_saveexec_b64 s[6:7], vcc
	s_xor_b64 s[6:7], exec, s[6:7]
	s_cbranch_execnz .LBB4_1477
; %bb.455:                              ;   in Loop: Header=BB4_62 Depth=1
	s_or_saveexec_b64 s[6:7], s[6:7]
	v_mov_b32_e32 v54, s10
	s_xor_b64 exec, exec, s[6:7]
	s_cbranch_execnz .LBB4_1480
.LBB4_456:                              ;   in Loop: Header=BB4_62 Depth=1
	s_or_b64 exec, exec, s[6:7]
	s_and_saveexec_b64 s[6:7], s[4:5]
	s_cbranch_execz .LBB4_458
.LBB4_457:                              ;   in Loop: Header=BB4_62 Depth=1
	v_and_b32_e32 v4, 7, v4
	v_ffbh_u32_e32 v7, v4
	v_min_u32_e32 v7, 32, v7
	v_lshrrev_b16_sdwa v6, v60, v32 dst_sel:DWORD dst_unused:UNUSED_PAD src0_sel:DWORD src1_sel:WORD_1
	v_subrev_u32_e32 v8, 28, v7
	v_and_b32_e32 v6, 15, v6
	v_lshlrev_b32_e32 v8, v8, v4
	v_sub_u32_e32 v7, 29, v7
	v_and_b32_e32 v8, 7, v8
	v_cmp_eq_u16_e32 vcc, 0, v6
	v_lshrrev_b16_sdwa v5, v44, v32 dst_sel:DWORD dst_unused:UNUSED_PAD src0_sel:DWORD src1_sel:WORD_1
	v_cndmask_b32_e32 v4, v4, v8, vcc
	v_cndmask_b32_e32 v6, v6, v7, vcc
	v_lshlrev_b32_e32 v4, 20, v4
	v_lshlrev_b32_e32 v5, 31, v5
	v_lshl_add_u32 v6, v6, 23, v126
	v_or3_b32 v54, v5, v6, v4
.LBB4_458:                              ;   in Loop: Header=BB4_62 Depth=1
	s_or_b64 exec, exec, s[6:7]
	v_cmp_gt_i16_sdwa s[6:7], v33, s24 src0_sel:BYTE_0 src1_sel:DWORD
	s_mov_b64 s[4:5], 0
                                        ; implicit-def: $sgpr10
	s_and_saveexec_b64 s[8:9], s[6:7]
	s_xor_b64 s[6:7], exec, s[8:9]
	s_cbranch_execnz .LBB4_1481
; %bb.459:                              ;   in Loop: Header=BB4_62 Depth=1
	s_or_saveexec_b64 s[6:7], s[6:7]
	v_mov_b32_e32 v32, s10
	s_xor_b64 exec, exec, s[6:7]
	s_cbranch_execnz .LBB4_1484
.LBB4_460:                              ;   in Loop: Header=BB4_62 Depth=1
	s_or_b64 exec, exec, s[6:7]
	s_and_saveexec_b64 s[6:7], s[4:5]
	s_cbranch_execz .LBB4_462
.LBB4_461:                              ;   in Loop: Header=BB4_62 Depth=1
	v_and_b32_e32 v4, 7, v33
	v_ffbh_u32_e32 v7, v4
	v_min_u32_e32 v7, 32, v7
	v_lshrrev_b16_e32 v6, 3, v33
	v_subrev_u32_e32 v8, 28, v7
	v_and_b32_e32 v6, 15, v6
	v_lshlrev_b32_e32 v8, v8, v4
	v_sub_u32_e32 v7, 29, v7
	v_and_b32_e32 v8, 7, v8
	v_cmp_eq_u16_e32 vcc, 0, v6
	v_lshrrev_b16_e32 v5, 7, v33
	v_cndmask_b32_e32 v4, v4, v8, vcc
	v_cndmask_b32_e32 v6, v6, v7, vcc
	v_lshlrev_b32_e32 v4, 20, v4
	v_lshlrev_b32_e32 v5, 31, v5
	v_lshl_add_u32 v6, v6, 23, v126
	v_or3_b32 v32, v5, v6, v4
.LBB4_462:                              ;   in Loop: Header=BB4_62 Depth=1
	s_or_b64 exec, exec, s[6:7]
	v_cmp_gt_i16_sdwa s[6:7], v33, s24 src0_sel:BYTE_1 src1_sel:DWORD
	s_mov_b64 s[4:5], 0
                                        ; implicit-def: $sgpr10
	s_and_saveexec_b64 s[8:9], s[6:7]
	s_xor_b64 s[6:7], exec, s[8:9]
	s_cbranch_execnz .LBB4_1485
; %bb.463:                              ;   in Loop: Header=BB4_62 Depth=1
	s_or_saveexec_b64 s[6:7], s[6:7]
	v_mov_b32_e32 v55, s10
	s_xor_b64 exec, exec, s[6:7]
	s_cbranch_execnz .LBB4_1488
.LBB4_464:                              ;   in Loop: Header=BB4_62 Depth=1
	s_or_b64 exec, exec, s[6:7]
	s_and_saveexec_b64 s[6:7], s[4:5]
	s_cbranch_execz .LBB4_466
.LBB4_465:                              ;   in Loop: Header=BB4_62 Depth=1
	v_and_b32_sdwa v4, v33, v116 dst_sel:DWORD dst_unused:UNUSED_PAD src0_sel:BYTE_1 src1_sel:DWORD
	v_ffbh_u32_e32 v7, v4
	v_min_u32_e32 v7, 32, v7
	v_lshrrev_b16_e32 v6, 11, v33
	v_subrev_u32_e32 v8, 28, v7
	v_and_b32_e32 v6, 15, v6
	v_lshlrev_b32_e32 v8, v8, v4
	v_sub_u32_e32 v7, 29, v7
	v_and_b32_e32 v8, 7, v8
	v_cmp_eq_u16_e32 vcc, 0, v6
	v_lshrrev_b16_e32 v5, 15, v33
	v_cndmask_b32_e32 v4, v4, v8, vcc
	v_cndmask_b32_e32 v6, v6, v7, vcc
	v_lshlrev_b32_e32 v4, 20, v4
	v_lshlrev_b32_e32 v5, 31, v5
	v_lshl_add_u32 v6, v6, 23, v126
	v_or3_b32 v55, v5, v6, v4
.LBB4_466:                              ;   in Loop: Header=BB4_62 Depth=1
	s_or_b64 exec, exec, s[6:7]
	v_and_b32_sdwa v4, v33, s23 dst_sel:DWORD dst_unused:UNUSED_PAD src0_sel:WORD_1 src1_sel:DWORD
	v_cmp_lt_i16_e32 vcc, s24, v4
	s_mov_b64 s[4:5], 0
                                        ; implicit-def: $sgpr10
	s_and_saveexec_b64 s[6:7], vcc
	s_xor_b64 s[6:7], exec, s[6:7]
	s_cbranch_execnz .LBB4_1489
; %bb.467:                              ;   in Loop: Header=BB4_62 Depth=1
	s_or_saveexec_b64 s[6:7], s[6:7]
	v_mov_b32_e32 v65, s10
	s_xor_b64 exec, exec, s[6:7]
	s_cbranch_execnz .LBB4_1492
.LBB4_468:                              ;   in Loop: Header=BB4_62 Depth=1
	s_or_b64 exec, exec, s[6:7]
	s_and_saveexec_b64 s[6:7], s[4:5]
	s_cbranch_execz .LBB4_470
.LBB4_469:                              ;   in Loop: Header=BB4_62 Depth=1
	v_and_b32_sdwa v4, v33, v116 dst_sel:DWORD dst_unused:UNUSED_PAD src0_sel:WORD_1 src1_sel:DWORD
	v_ffbh_u32_e32 v7, v4
	v_min_u32_e32 v7, 32, v7
	v_lshrrev_b16_sdwa v6, v117, v33 dst_sel:DWORD dst_unused:UNUSED_PAD src0_sel:DWORD src1_sel:WORD_1
	v_subrev_u32_e32 v8, 28, v7
	v_and_b32_e32 v6, 15, v6
	v_lshlrev_b32_e32 v8, v8, v4
	v_sub_u32_e32 v7, 29, v7
	v_and_b32_e32 v8, 7, v8
	v_cmp_eq_u16_e32 vcc, 0, v6
	v_lshrrev_b16_sdwa v5, v116, v33 dst_sel:DWORD dst_unused:UNUSED_PAD src0_sel:DWORD src1_sel:WORD_1
	v_cndmask_b32_e32 v4, v4, v8, vcc
	v_cndmask_b32_e32 v6, v6, v7, vcc
	v_lshlrev_b32_e32 v4, 20, v4
	v_lshlrev_b32_e32 v5, 31, v5
	v_lshl_add_u32 v6, v6, 23, v126
	v_or3_b32 v65, v5, v6, v4
.LBB4_470:                              ;   in Loop: Header=BB4_62 Depth=1
	s_or_b64 exec, exec, s[6:7]
	v_lshrrev_b16_sdwa v4, v124, v33 dst_sel:DWORD dst_unused:UNUSED_PAD src0_sel:DWORD src1_sel:WORD_1
	v_cmp_lt_i16_e32 vcc, s24, v4
	s_mov_b64 s[4:5], 0
                                        ; implicit-def: $sgpr10
	s_and_saveexec_b64 s[6:7], vcc
	s_xor_b64 s[6:7], exec, s[6:7]
	s_cbranch_execnz .LBB4_1493
; %bb.471:                              ;   in Loop: Header=BB4_62 Depth=1
	s_or_saveexec_b64 s[6:7], s[6:7]
	v_mov_b32_e32 v66, s10
	s_xor_b64 exec, exec, s[6:7]
	s_cbranch_execnz .LBB4_1496
.LBB4_472:                              ;   in Loop: Header=BB4_62 Depth=1
	s_or_b64 exec, exec, s[6:7]
	s_and_saveexec_b64 s[6:7], s[4:5]
	s_cbranch_execz .LBB4_474
.LBB4_473:                              ;   in Loop: Header=BB4_62 Depth=1
	v_and_b32_e32 v4, 7, v4
	v_ffbh_u32_e32 v7, v4
	v_min_u32_e32 v7, 32, v7
	v_lshrrev_b16_sdwa v6, v60, v33 dst_sel:DWORD dst_unused:UNUSED_PAD src0_sel:DWORD src1_sel:WORD_1
	v_subrev_u32_e32 v8, 28, v7
	v_and_b32_e32 v6, 15, v6
	v_lshlrev_b32_e32 v8, v8, v4
	v_sub_u32_e32 v7, 29, v7
	v_and_b32_e32 v8, 7, v8
	v_cmp_eq_u16_e32 vcc, 0, v6
	v_lshrrev_b16_sdwa v5, v44, v33 dst_sel:DWORD dst_unused:UNUSED_PAD src0_sel:DWORD src1_sel:WORD_1
	v_cndmask_b32_e32 v4, v4, v8, vcc
	v_cndmask_b32_e32 v6, v6, v7, vcc
	v_lshlrev_b32_e32 v4, 20, v4
	v_lshlrev_b32_e32 v5, 31, v5
	v_lshl_add_u32 v6, v6, 23, v126
	v_or3_b32 v66, v5, v6, v4
.LBB4_474:                              ;   in Loop: Header=BB4_62 Depth=1
	s_or_b64 exec, exec, s[6:7]
	v_cmp_gt_i16_sdwa s[6:7], v34, s24 src0_sel:BYTE_0 src1_sel:DWORD
	s_mov_b64 s[4:5], 0
                                        ; implicit-def: $sgpr10
	s_and_saveexec_b64 s[8:9], s[6:7]
	s_xor_b64 s[6:7], exec, s[8:9]
	s_cbranch_execnz .LBB4_1497
; %bb.475:                              ;   in Loop: Header=BB4_62 Depth=1
	s_or_saveexec_b64 s[6:7], s[6:7]
	v_mov_b32_e32 v33, s10
	s_xor_b64 exec, exec, s[6:7]
	s_cbranch_execnz .LBB4_1500
.LBB4_476:                              ;   in Loop: Header=BB4_62 Depth=1
	s_or_b64 exec, exec, s[6:7]
	s_and_saveexec_b64 s[6:7], s[4:5]
	s_cbranch_execz .LBB4_478
.LBB4_477:                              ;   in Loop: Header=BB4_62 Depth=1
	v_and_b32_e32 v4, 7, v34
	v_ffbh_u32_e32 v7, v4
	v_min_u32_e32 v7, 32, v7
	v_lshrrev_b16_e32 v6, 3, v34
	v_subrev_u32_e32 v8, 28, v7
	v_and_b32_e32 v6, 15, v6
	v_lshlrev_b32_e32 v8, v8, v4
	v_sub_u32_e32 v7, 29, v7
	v_and_b32_e32 v8, 7, v8
	v_cmp_eq_u16_e32 vcc, 0, v6
	v_lshrrev_b16_e32 v5, 7, v34
	v_cndmask_b32_e32 v4, v4, v8, vcc
	v_cndmask_b32_e32 v6, v6, v7, vcc
	v_lshlrev_b32_e32 v4, 20, v4
	v_lshlrev_b32_e32 v5, 31, v5
	v_lshl_add_u32 v6, v6, 23, v126
	v_or3_b32 v33, v5, v6, v4
.LBB4_478:                              ;   in Loop: Header=BB4_62 Depth=1
	s_or_b64 exec, exec, s[6:7]
	v_cmp_gt_i16_sdwa s[6:7], v34, s24 src0_sel:BYTE_1 src1_sel:DWORD
	s_mov_b64 s[4:5], 0
                                        ; implicit-def: $sgpr10
	s_and_saveexec_b64 s[8:9], s[6:7]
	s_xor_b64 s[6:7], exec, s[8:9]
	s_cbranch_execnz .LBB4_1501
; %bb.479:                              ;   in Loop: Header=BB4_62 Depth=1
	s_or_saveexec_b64 s[6:7], s[6:7]
	v_mov_b32_e32 v67, s10
	s_xor_b64 exec, exec, s[6:7]
	s_cbranch_execnz .LBB4_1504
.LBB4_480:                              ;   in Loop: Header=BB4_62 Depth=1
	s_or_b64 exec, exec, s[6:7]
	s_and_saveexec_b64 s[6:7], s[4:5]
	s_cbranch_execz .LBB4_482
.LBB4_481:                              ;   in Loop: Header=BB4_62 Depth=1
	v_and_b32_sdwa v4, v34, v116 dst_sel:DWORD dst_unused:UNUSED_PAD src0_sel:BYTE_1 src1_sel:DWORD
	v_ffbh_u32_e32 v7, v4
	v_min_u32_e32 v7, 32, v7
	v_lshrrev_b16_e32 v6, 11, v34
	v_subrev_u32_e32 v8, 28, v7
	v_and_b32_e32 v6, 15, v6
	v_lshlrev_b32_e32 v8, v8, v4
	v_sub_u32_e32 v7, 29, v7
	v_and_b32_e32 v8, 7, v8
	v_cmp_eq_u16_e32 vcc, 0, v6
	v_lshrrev_b16_e32 v5, 15, v34
	v_cndmask_b32_e32 v4, v4, v8, vcc
	v_cndmask_b32_e32 v6, v6, v7, vcc
	v_lshlrev_b32_e32 v4, 20, v4
	v_lshlrev_b32_e32 v5, 31, v5
	v_lshl_add_u32 v6, v6, 23, v126
	v_or3_b32 v67, v5, v6, v4
.LBB4_482:                              ;   in Loop: Header=BB4_62 Depth=1
	s_or_b64 exec, exec, s[6:7]
	v_and_b32_sdwa v4, v34, s23 dst_sel:DWORD dst_unused:UNUSED_PAD src0_sel:WORD_1 src1_sel:DWORD
	v_cmp_lt_i16_e32 vcc, s24, v4
	s_mov_b64 s[4:5], 0
                                        ; implicit-def: $sgpr10
	s_and_saveexec_b64 s[6:7], vcc
	s_xor_b64 s[6:7], exec, s[6:7]
	s_cbranch_execnz .LBB4_1505
; %bb.483:                              ;   in Loop: Header=BB4_62 Depth=1
	s_or_saveexec_b64 s[6:7], s[6:7]
	v_mov_b32_e32 v68, s10
	s_xor_b64 exec, exec, s[6:7]
	s_cbranch_execnz .LBB4_1508
.LBB4_484:                              ;   in Loop: Header=BB4_62 Depth=1
	s_or_b64 exec, exec, s[6:7]
	s_and_saveexec_b64 s[6:7], s[4:5]
	s_cbranch_execz .LBB4_486
.LBB4_485:                              ;   in Loop: Header=BB4_62 Depth=1
	v_and_b32_sdwa v4, v34, v116 dst_sel:DWORD dst_unused:UNUSED_PAD src0_sel:WORD_1 src1_sel:DWORD
	v_ffbh_u32_e32 v7, v4
	v_min_u32_e32 v7, 32, v7
	v_lshrrev_b16_sdwa v6, v117, v34 dst_sel:DWORD dst_unused:UNUSED_PAD src0_sel:DWORD src1_sel:WORD_1
	v_subrev_u32_e32 v8, 28, v7
	v_and_b32_e32 v6, 15, v6
	v_lshlrev_b32_e32 v8, v8, v4
	v_sub_u32_e32 v7, 29, v7
	v_and_b32_e32 v8, 7, v8
	v_cmp_eq_u16_e32 vcc, 0, v6
	v_lshrrev_b16_sdwa v5, v116, v34 dst_sel:DWORD dst_unused:UNUSED_PAD src0_sel:DWORD src1_sel:WORD_1
	v_cndmask_b32_e32 v4, v4, v8, vcc
	v_cndmask_b32_e32 v6, v6, v7, vcc
	v_lshlrev_b32_e32 v4, 20, v4
	v_lshlrev_b32_e32 v5, 31, v5
	v_lshl_add_u32 v6, v6, 23, v126
	v_or3_b32 v68, v5, v6, v4
.LBB4_486:                              ;   in Loop: Header=BB4_62 Depth=1
	s_or_b64 exec, exec, s[6:7]
	v_lshrrev_b16_sdwa v5, v124, v34 dst_sel:DWORD dst_unused:UNUSED_PAD src0_sel:DWORD src1_sel:WORD_1
	v_cmp_lt_i16_e32 vcc, s24, v5
	s_mov_b64 s[4:5], 0
                                        ; implicit-def: $sgpr10
	s_and_saveexec_b64 s[6:7], vcc
	s_xor_b64 s[6:7], exec, s[6:7]
	s_cbranch_execnz .LBB4_1509
; %bb.487:                              ;   in Loop: Header=BB4_62 Depth=1
	s_or_saveexec_b64 s[6:7], s[6:7]
	v_mov_b32_e32 v4, s10
	s_xor_b64 exec, exec, s[6:7]
	s_cbranch_execnz .LBB4_1512
.LBB4_488:                              ;   in Loop: Header=BB4_62 Depth=1
	s_or_b64 exec, exec, s[6:7]
	s_and_saveexec_b64 s[6:7], s[4:5]
	s_cbranch_execz .LBB4_490
.LBB4_489:                              ;   in Loop: Header=BB4_62 Depth=1
	v_and_b32_e32 v4, 7, v5
	v_ffbh_u32_e32 v7, v4
	v_min_u32_e32 v7, 32, v7
	v_lshrrev_b16_sdwa v6, v60, v34 dst_sel:DWORD dst_unused:UNUSED_PAD src0_sel:DWORD src1_sel:WORD_1
	v_subrev_u32_e32 v8, 28, v7
	v_and_b32_e32 v6, 15, v6
	v_lshlrev_b32_e32 v8, v8, v4
	v_sub_u32_e32 v7, 29, v7
	v_and_b32_e32 v8, 7, v8
	v_cmp_eq_u16_e32 vcc, 0, v6
	v_lshrrev_b16_sdwa v5, v44, v34 dst_sel:DWORD dst_unused:UNUSED_PAD src0_sel:DWORD src1_sel:WORD_1
	v_cndmask_b32_e32 v4, v4, v8, vcc
	v_cndmask_b32_e32 v6, v6, v7, vcc
	v_lshlrev_b32_e32 v4, 20, v4
	v_lshlrev_b32_e32 v5, 31, v5
	v_lshl_add_u32 v6, v6, 23, v126
	v_or3_b32 v4, v5, v6, v4
.LBB4_490:                              ;   in Loop: Header=BB4_62 Depth=1
	s_or_b64 exec, exec, s[6:7]
	v_cmp_gt_i16_sdwa s[6:7], v35, s24 src0_sel:BYTE_0 src1_sel:DWORD
	s_mov_b64 s[4:5], 0
                                        ; implicit-def: $sgpr10
	s_and_saveexec_b64 s[8:9], s[6:7]
	s_xor_b64 s[6:7], exec, s[8:9]
	s_cbranch_execnz .LBB4_1513
; %bb.491:                              ;   in Loop: Header=BB4_62 Depth=1
	s_or_saveexec_b64 s[6:7], s[6:7]
	v_mov_b32_e32 v5, s10
	s_xor_b64 exec, exec, s[6:7]
	s_cbranch_execnz .LBB4_1516
.LBB4_492:                              ;   in Loop: Header=BB4_62 Depth=1
	s_or_b64 exec, exec, s[6:7]
	s_and_saveexec_b64 s[6:7], s[4:5]
	s_cbranch_execz .LBB4_494
.LBB4_493:                              ;   in Loop: Header=BB4_62 Depth=1
	v_and_b32_e32 v5, 7, v35
	v_ffbh_u32_e32 v8, v5
	v_min_u32_e32 v8, 32, v8
	v_lshrrev_b16_e32 v7, 3, v35
	v_subrev_u32_e32 v9, 28, v8
	v_and_b32_e32 v7, 15, v7
	v_lshlrev_b32_e32 v9, v9, v5
	v_sub_u32_e32 v8, 29, v8
	v_and_b32_e32 v9, 7, v9
	v_cmp_eq_u16_e32 vcc, 0, v7
	v_lshrrev_b16_e32 v6, 7, v35
	v_cndmask_b32_e32 v5, v5, v9, vcc
	v_cndmask_b32_e32 v7, v7, v8, vcc
	v_lshlrev_b32_e32 v5, 20, v5
	v_lshlrev_b32_e32 v6, 31, v6
	v_lshl_add_u32 v7, v7, 23, v126
	v_or3_b32 v5, v6, v7, v5
.LBB4_494:                              ;   in Loop: Header=BB4_62 Depth=1
	s_or_b64 exec, exec, s[6:7]
	v_cmp_gt_i16_sdwa s[6:7], v35, s24 src0_sel:BYTE_1 src1_sel:DWORD
	s_mov_b64 s[4:5], 0
                                        ; implicit-def: $sgpr10
	s_and_saveexec_b64 s[8:9], s[6:7]
	s_xor_b64 s[6:7], exec, s[8:9]
	s_cbranch_execnz .LBB4_1517
; %bb.495:                              ;   in Loop: Header=BB4_62 Depth=1
	s_or_saveexec_b64 s[6:7], s[6:7]
	v_mov_b32_e32 v6, s10
	s_xor_b64 exec, exec, s[6:7]
	s_cbranch_execnz .LBB4_1520
.LBB4_496:                              ;   in Loop: Header=BB4_62 Depth=1
	s_or_b64 exec, exec, s[6:7]
	s_and_saveexec_b64 s[6:7], s[4:5]
	s_cbranch_execz .LBB4_498
.LBB4_497:                              ;   in Loop: Header=BB4_62 Depth=1
	v_and_b32_sdwa v6, v35, v116 dst_sel:DWORD dst_unused:UNUSED_PAD src0_sel:BYTE_1 src1_sel:DWORD
	v_ffbh_u32_e32 v9, v6
	v_min_u32_e32 v9, 32, v9
	v_lshrrev_b16_e32 v8, 11, v35
	v_subrev_u32_e32 v10, 28, v9
	v_and_b32_e32 v8, 15, v8
	v_lshlrev_b32_e32 v10, v10, v6
	v_sub_u32_e32 v9, 29, v9
	v_and_b32_e32 v10, 7, v10
	v_cmp_eq_u16_e32 vcc, 0, v8
	v_lshrrev_b16_e32 v7, 15, v35
	v_cndmask_b32_e32 v6, v6, v10, vcc
	v_cndmask_b32_e32 v8, v8, v9, vcc
	v_lshlrev_b32_e32 v6, 20, v6
	v_lshlrev_b32_e32 v7, 31, v7
	v_lshl_add_u32 v8, v8, 23, v126
	v_or3_b32 v6, v7, v8, v6
.LBB4_498:                              ;   in Loop: Header=BB4_62 Depth=1
	s_or_b64 exec, exec, s[6:7]
	v_and_b32_sdwa v8, v35, s23 dst_sel:DWORD dst_unused:UNUSED_PAD src0_sel:WORD_1 src1_sel:DWORD
	v_cmp_lt_i16_e32 vcc, s24, v8
	s_mov_b64 s[4:5], 0
                                        ; implicit-def: $sgpr10
	s_and_saveexec_b64 s[6:7], vcc
	s_xor_b64 s[6:7], exec, s[6:7]
	s_cbranch_execnz .LBB4_1521
; %bb.499:                              ;   in Loop: Header=BB4_62 Depth=1
	s_or_saveexec_b64 s[6:7], s[6:7]
	v_mov_b32_e32 v7, s10
	s_xor_b64 exec, exec, s[6:7]
	s_cbranch_execnz .LBB4_1524
.LBB4_500:                              ;   in Loop: Header=BB4_62 Depth=1
	s_or_b64 exec, exec, s[6:7]
	s_and_saveexec_b64 s[6:7], s[4:5]
	s_cbranch_execz .LBB4_502
.LBB4_501:                              ;   in Loop: Header=BB4_62 Depth=1
	v_and_b32_sdwa v7, v35, v116 dst_sel:DWORD dst_unused:UNUSED_PAD src0_sel:WORD_1 src1_sel:DWORD
	v_ffbh_u32_e32 v10, v7
	v_min_u32_e32 v10, 32, v10
	v_lshrrev_b16_sdwa v9, v117, v35 dst_sel:DWORD dst_unused:UNUSED_PAD src0_sel:DWORD src1_sel:WORD_1
	v_subrev_u32_e32 v11, 28, v10
	v_and_b32_e32 v9, 15, v9
	v_lshlrev_b32_e32 v11, v11, v7
	v_sub_u32_e32 v10, 29, v10
	v_and_b32_e32 v11, 7, v11
	v_cmp_eq_u16_e32 vcc, 0, v9
	v_lshrrev_b16_sdwa v8, v116, v35 dst_sel:DWORD dst_unused:UNUSED_PAD src0_sel:DWORD src1_sel:WORD_1
	v_cndmask_b32_e32 v7, v7, v11, vcc
	v_cndmask_b32_e32 v9, v9, v10, vcc
	v_lshlrev_b32_e32 v7, 20, v7
	v_lshlrev_b32_e32 v8, 31, v8
	v_lshl_add_u32 v9, v9, 23, v126
	v_or3_b32 v7, v8, v9, v7
.LBB4_502:                              ;   in Loop: Header=BB4_62 Depth=1
	s_or_b64 exec, exec, s[6:7]
	v_lshrrev_b16_sdwa v34, v124, v35 dst_sel:DWORD dst_unused:UNUSED_PAD src0_sel:DWORD src1_sel:WORD_1
	v_cmp_lt_i16_e32 vcc, s24, v34
	s_mov_b64 s[4:5], 0
                                        ; implicit-def: $sgpr10
	s_and_saveexec_b64 s[6:7], vcc
	s_xor_b64 s[6:7], exec, s[6:7]
	s_cbranch_execnz .LBB4_1525
; %bb.503:                              ;   in Loop: Header=BB4_62 Depth=1
	s_or_saveexec_b64 s[6:7], s[6:7]
	v_mov_b32_e32 v69, s10
	s_xor_b64 exec, exec, s[6:7]
	s_cbranch_execnz .LBB4_1528
.LBB4_504:                              ;   in Loop: Header=BB4_62 Depth=1
	s_or_b64 exec, exec, s[6:7]
	s_and_saveexec_b64 s[6:7], s[4:5]
	s_cbranch_execz .LBB4_506
.LBB4_505:                              ;   in Loop: Header=BB4_62 Depth=1
	v_and_b32_e32 v8, 7, v34
	v_ffbh_u32_e32 v11, v8
	v_min_u32_e32 v11, 32, v11
	v_lshrrev_b16_sdwa v10, v60, v35 dst_sel:DWORD dst_unused:UNUSED_PAD src0_sel:DWORD src1_sel:WORD_1
	v_subrev_u32_e32 v34, 28, v11
	v_and_b32_e32 v10, 15, v10
	v_lshlrev_b32_e32 v34, v34, v8
	v_sub_u32_e32 v11, 29, v11
	v_and_b32_e32 v34, 7, v34
	v_cmp_eq_u16_e32 vcc, 0, v10
	v_lshrrev_b16_sdwa v9, v44, v35 dst_sel:DWORD dst_unused:UNUSED_PAD src0_sel:DWORD src1_sel:WORD_1
	v_cndmask_b32_e32 v8, v8, v34, vcc
	v_cndmask_b32_e32 v10, v10, v11, vcc
	v_lshlrev_b32_e32 v8, 20, v8
	v_lshlrev_b32_e32 v9, 31, v9
	v_lshl_add_u32 v10, v10, 23, v126
	v_or3_b32 v69, v9, v10, v8
.LBB4_506:                              ;   in Loop: Header=BB4_62 Depth=1
	s_or_b64 exec, exec, s[6:7]
	v_cvt_pkrtz_f16_f32 v5, v5, v6
	v_cvt_pkrtz_f16_f32 v0, v0, v52
	;; [unrolled: 1-line block ×8, first 2 shown]
	buffer_store_dword v6, off, s[0:3], s33 offset:164
	buffer_store_dword v0, off, s[0:3], s33 offset:160
	;; [unrolled: 1-line block ×8, first 2 shown]
	v_add_u32_e32 v0, v51, v3
	v_xor_b32_e32 v0, v50, v0
	v_sub_u32_e32 v0, v0, v38
	v_lshlrev_b32_e32 v0, 4, v0
	v_add3_u32 v0, v1, v2, v0
	v_ashrrev_i32_e32 v1, 31, v0
	v_add_co_u32_e32 v0, vcc, v36, v0
	v_addc_co_u32_e32 v1, vcc, v37, v1, vcc
	flat_load_dwordx4 v[32:35], v[0:1]
	s_mov_b64 s[4:5], 0
                                        ; implicit-def: $sgpr10
	s_waitcnt vmcnt(0) lgkmcnt(0)
	v_cmp_gt_i16_sdwa s[6:7], v32, s24 src0_sel:BYTE_0 src1_sel:DWORD
	s_and_saveexec_b64 s[8:9], s[6:7]
	s_xor_b64 s[6:7], exec, s[8:9]
	s_cbranch_execnz .LBB4_1529
; %bb.507:                              ;   in Loop: Header=BB4_62 Depth=1
	s_or_saveexec_b64 s[6:7], s[6:7]
	v_mov_b32_e32 v0, s10
	s_xor_b64 exec, exec, s[6:7]
	s_cbranch_execnz .LBB4_1532
.LBB4_508:                              ;   in Loop: Header=BB4_62 Depth=1
	s_or_b64 exec, exec, s[6:7]
	s_and_saveexec_b64 s[6:7], s[4:5]
	s_cbranch_execz .LBB4_510
.LBB4_509:                              ;   in Loop: Header=BB4_62 Depth=1
	v_and_b32_e32 v0, 7, v32
	v_ffbh_u32_e32 v3, v0
	v_min_u32_e32 v3, 32, v3
	v_lshrrev_b16_e32 v2, 3, v32
	v_subrev_u32_e32 v4, 28, v3
	v_and_b32_e32 v2, 15, v2
	v_lshlrev_b32_e32 v4, v4, v0
	v_sub_u32_e32 v3, 29, v3
	v_and_b32_e32 v4, 7, v4
	v_cmp_eq_u16_e32 vcc, 0, v2
	v_lshrrev_b16_e32 v1, 7, v32
	v_cndmask_b32_e32 v0, v0, v4, vcc
	v_cndmask_b32_e32 v2, v2, v3, vcc
	v_lshlrev_b32_e32 v0, 20, v0
	v_lshlrev_b32_e32 v1, 31, v1
	v_lshl_add_u32 v2, v2, 23, v126
	v_or3_b32 v0, v1, v2, v0
.LBB4_510:                              ;   in Loop: Header=BB4_62 Depth=1
	s_or_b64 exec, exec, s[6:7]
	v_cmp_gt_i16_sdwa s[6:7], v32, s24 src0_sel:BYTE_1 src1_sel:DWORD
	s_mov_b64 s[4:5], 0
                                        ; implicit-def: $sgpr10
	s_and_saveexec_b64 s[8:9], s[6:7]
	s_xor_b64 s[6:7], exec, s[8:9]
	s_cbranch_execnz .LBB4_1533
; %bb.511:                              ;   in Loop: Header=BB4_62 Depth=1
	s_or_saveexec_b64 s[6:7], s[6:7]
	v_mov_b32_e32 v1, s10
	s_xor_b64 exec, exec, s[6:7]
	s_cbranch_execnz .LBB4_1536
.LBB4_512:                              ;   in Loop: Header=BB4_62 Depth=1
	s_or_b64 exec, exec, s[6:7]
	s_and_saveexec_b64 s[6:7], s[4:5]
	s_cbranch_execz .LBB4_514
.LBB4_513:                              ;   in Loop: Header=BB4_62 Depth=1
	v_and_b32_sdwa v1, v32, v116 dst_sel:DWORD dst_unused:UNUSED_PAD src0_sel:BYTE_1 src1_sel:DWORD
	v_ffbh_u32_e32 v4, v1
	v_min_u32_e32 v4, 32, v4
	v_lshrrev_b16_e32 v3, 11, v32
	v_subrev_u32_e32 v5, 28, v4
	v_and_b32_e32 v3, 15, v3
	v_lshlrev_b32_e32 v5, v5, v1
	v_sub_u32_e32 v4, 29, v4
	v_and_b32_e32 v5, 7, v5
	v_cmp_eq_u16_e32 vcc, 0, v3
	v_lshrrev_b16_e32 v2, 15, v32
	v_cndmask_b32_e32 v1, v1, v5, vcc
	v_cndmask_b32_e32 v3, v3, v4, vcc
	v_lshlrev_b32_e32 v1, 20, v1
	v_lshlrev_b32_e32 v2, 31, v2
	v_lshl_add_u32 v3, v3, 23, v126
	v_or3_b32 v1, v2, v3, v1
.LBB4_514:                              ;   in Loop: Header=BB4_62 Depth=1
	s_or_b64 exec, exec, s[6:7]
	v_and_b32_sdwa v3, v32, s23 dst_sel:DWORD dst_unused:UNUSED_PAD src0_sel:WORD_1 src1_sel:DWORD
	v_cmp_lt_i16_e32 vcc, s24, v3
	s_mov_b64 s[4:5], 0
                                        ; implicit-def: $sgpr10
	s_and_saveexec_b64 s[6:7], vcc
	s_xor_b64 s[6:7], exec, s[6:7]
	s_cbranch_execnz .LBB4_1537
; %bb.515:                              ;   in Loop: Header=BB4_62 Depth=1
	s_or_saveexec_b64 s[6:7], s[6:7]
	v_mov_b32_e32 v2, s10
	s_xor_b64 exec, exec, s[6:7]
	s_cbranch_execnz .LBB4_1540
.LBB4_516:                              ;   in Loop: Header=BB4_62 Depth=1
	s_or_b64 exec, exec, s[6:7]
	s_and_saveexec_b64 s[6:7], s[4:5]
	s_cbranch_execz .LBB4_518
.LBB4_517:                              ;   in Loop: Header=BB4_62 Depth=1
	v_and_b32_sdwa v2, v32, v116 dst_sel:DWORD dst_unused:UNUSED_PAD src0_sel:WORD_1 src1_sel:DWORD
	v_ffbh_u32_e32 v5, v2
	v_min_u32_e32 v5, 32, v5
	v_lshrrev_b16_sdwa v4, v117, v32 dst_sel:DWORD dst_unused:UNUSED_PAD src0_sel:DWORD src1_sel:WORD_1
	v_subrev_u32_e32 v6, 28, v5
	v_and_b32_e32 v4, 15, v4
	v_lshlrev_b32_e32 v6, v6, v2
	v_sub_u32_e32 v5, 29, v5
	v_and_b32_e32 v6, 7, v6
	v_cmp_eq_u16_e32 vcc, 0, v4
	v_lshrrev_b16_sdwa v3, v116, v32 dst_sel:DWORD dst_unused:UNUSED_PAD src0_sel:DWORD src1_sel:WORD_1
	v_cndmask_b32_e32 v2, v2, v6, vcc
	v_cndmask_b32_e32 v4, v4, v5, vcc
	v_lshlrev_b32_e32 v2, 20, v2
	v_lshlrev_b32_e32 v3, 31, v3
	v_lshl_add_u32 v4, v4, 23, v126
	v_or3_b32 v2, v3, v4, v2
.LBB4_518:                              ;   in Loop: Header=BB4_62 Depth=1
	s_or_b64 exec, exec, s[6:7]
	v_lshrrev_b16_sdwa v4, v124, v32 dst_sel:DWORD dst_unused:UNUSED_PAD src0_sel:DWORD src1_sel:WORD_1
	v_cmp_lt_i16_e32 vcc, s24, v4
	s_mov_b64 s[4:5], 0
                                        ; implicit-def: $sgpr10
	s_and_saveexec_b64 s[6:7], vcc
	s_xor_b64 s[6:7], exec, s[6:7]
	s_cbranch_execnz .LBB4_1541
; %bb.519:                              ;   in Loop: Header=BB4_62 Depth=1
	s_or_saveexec_b64 s[6:7], s[6:7]
	v_mov_b32_e32 v3, s10
	s_xor_b64 exec, exec, s[6:7]
	s_cbranch_execnz .LBB4_1544
.LBB4_520:                              ;   in Loop: Header=BB4_62 Depth=1
	s_or_b64 exec, exec, s[6:7]
	s_and_saveexec_b64 s[6:7], s[4:5]
	s_cbranch_execz .LBB4_522
.LBB4_521:                              ;   in Loop: Header=BB4_62 Depth=1
	v_and_b32_e32 v3, 7, v4
	v_ffbh_u32_e32 v6, v3
	v_min_u32_e32 v6, 32, v6
	v_lshrrev_b16_sdwa v5, v60, v32 dst_sel:DWORD dst_unused:UNUSED_PAD src0_sel:DWORD src1_sel:WORD_1
	v_subrev_u32_e32 v7, 28, v6
	v_and_b32_e32 v5, 15, v5
	v_lshlrev_b32_e32 v7, v7, v3
	v_sub_u32_e32 v6, 29, v6
	v_and_b32_e32 v7, 7, v7
	v_cmp_eq_u16_e32 vcc, 0, v5
	v_lshrrev_b16_sdwa v4, v44, v32 dst_sel:DWORD dst_unused:UNUSED_PAD src0_sel:DWORD src1_sel:WORD_1
	v_cndmask_b32_e32 v3, v3, v7, vcc
	v_cndmask_b32_e32 v5, v5, v6, vcc
	v_lshlrev_b32_e32 v3, 20, v3
	v_lshlrev_b32_e32 v4, 31, v4
	v_lshl_add_u32 v5, v5, 23, v126
	v_or3_b32 v3, v4, v5, v3
.LBB4_522:                              ;   in Loop: Header=BB4_62 Depth=1
	s_or_b64 exec, exec, s[6:7]
	v_cmp_gt_i16_sdwa s[6:7], v33, s24 src0_sel:BYTE_0 src1_sel:DWORD
	s_mov_b64 s[4:5], 0
                                        ; implicit-def: $sgpr10
	s_and_saveexec_b64 s[8:9], s[6:7]
	s_xor_b64 s[6:7], exec, s[8:9]
	s_cbranch_execnz .LBB4_1545
; %bb.523:                              ;   in Loop: Header=BB4_62 Depth=1
	s_or_saveexec_b64 s[6:7], s[6:7]
	v_mov_b32_e32 v32, s10
	s_xor_b64 exec, exec, s[6:7]
	s_cbranch_execnz .LBB4_1548
.LBB4_524:                              ;   in Loop: Header=BB4_62 Depth=1
	s_or_b64 exec, exec, s[6:7]
	s_and_saveexec_b64 s[6:7], s[4:5]
	s_cbranch_execz .LBB4_526
.LBB4_525:                              ;   in Loop: Header=BB4_62 Depth=1
	v_and_b32_e32 v4, 7, v33
	v_ffbh_u32_e32 v7, v4
	v_min_u32_e32 v7, 32, v7
	v_lshrrev_b16_e32 v6, 3, v33
	v_subrev_u32_e32 v8, 28, v7
	v_and_b32_e32 v6, 15, v6
	v_lshlrev_b32_e32 v8, v8, v4
	v_sub_u32_e32 v7, 29, v7
	v_and_b32_e32 v8, 7, v8
	v_cmp_eq_u16_e32 vcc, 0, v6
	v_lshrrev_b16_e32 v5, 7, v33
	v_cndmask_b32_e32 v4, v4, v8, vcc
	v_cndmask_b32_e32 v6, v6, v7, vcc
	v_lshlrev_b32_e32 v4, 20, v4
	v_lshlrev_b32_e32 v5, 31, v5
	v_lshl_add_u32 v6, v6, 23, v126
	v_or3_b32 v32, v5, v6, v4
.LBB4_526:                              ;   in Loop: Header=BB4_62 Depth=1
	s_or_b64 exec, exec, s[6:7]
	v_cmp_gt_i16_sdwa s[6:7], v33, s24 src0_sel:BYTE_1 src1_sel:DWORD
	s_mov_b64 s[4:5], 0
                                        ; implicit-def: $sgpr10
	s_and_saveexec_b64 s[8:9], s[6:7]
	s_xor_b64 s[6:7], exec, s[8:9]
	s_cbranch_execnz .LBB4_1549
; %bb.527:                              ;   in Loop: Header=BB4_62 Depth=1
	s_or_saveexec_b64 s[6:7], s[6:7]
	v_mov_b32_e32 v52, s10
	s_xor_b64 exec, exec, s[6:7]
	s_cbranch_execnz .LBB4_1552
.LBB4_528:                              ;   in Loop: Header=BB4_62 Depth=1
	s_or_b64 exec, exec, s[6:7]
	s_and_saveexec_b64 s[6:7], s[4:5]
	s_cbranch_execz .LBB4_530
.LBB4_529:                              ;   in Loop: Header=BB4_62 Depth=1
	v_and_b32_sdwa v4, v33, v116 dst_sel:DWORD dst_unused:UNUSED_PAD src0_sel:BYTE_1 src1_sel:DWORD
	v_ffbh_u32_e32 v7, v4
	v_min_u32_e32 v7, 32, v7
	v_lshrrev_b16_e32 v6, 11, v33
	v_subrev_u32_e32 v8, 28, v7
	v_and_b32_e32 v6, 15, v6
	v_lshlrev_b32_e32 v8, v8, v4
	v_sub_u32_e32 v7, 29, v7
	v_and_b32_e32 v8, 7, v8
	v_cmp_eq_u16_e32 vcc, 0, v6
	v_lshrrev_b16_e32 v5, 15, v33
	v_cndmask_b32_e32 v4, v4, v8, vcc
	v_cndmask_b32_e32 v6, v6, v7, vcc
	v_lshlrev_b32_e32 v4, 20, v4
	v_lshlrev_b32_e32 v5, 31, v5
	v_lshl_add_u32 v6, v6, 23, v126
	v_or3_b32 v52, v5, v6, v4
.LBB4_530:                              ;   in Loop: Header=BB4_62 Depth=1
	s_or_b64 exec, exec, s[6:7]
	v_and_b32_sdwa v4, v33, s23 dst_sel:DWORD dst_unused:UNUSED_PAD src0_sel:WORD_1 src1_sel:DWORD
	v_cmp_lt_i16_e32 vcc, s24, v4
	s_mov_b64 s[4:5], 0
                                        ; implicit-def: $sgpr10
	s_and_saveexec_b64 s[6:7], vcc
	s_xor_b64 s[6:7], exec, s[6:7]
	s_cbranch_execnz .LBB4_1553
; %bb.531:                              ;   in Loop: Header=BB4_62 Depth=1
	s_or_saveexec_b64 s[6:7], s[6:7]
	v_mov_b32_e32 v53, s10
	s_xor_b64 exec, exec, s[6:7]
	s_cbranch_execnz .LBB4_1556
.LBB4_532:                              ;   in Loop: Header=BB4_62 Depth=1
	s_or_b64 exec, exec, s[6:7]
	s_and_saveexec_b64 s[6:7], s[4:5]
	s_cbranch_execz .LBB4_534
.LBB4_533:                              ;   in Loop: Header=BB4_62 Depth=1
	v_and_b32_sdwa v4, v33, v116 dst_sel:DWORD dst_unused:UNUSED_PAD src0_sel:WORD_1 src1_sel:DWORD
	v_ffbh_u32_e32 v7, v4
	v_min_u32_e32 v7, 32, v7
	v_lshrrev_b16_sdwa v6, v117, v33 dst_sel:DWORD dst_unused:UNUSED_PAD src0_sel:DWORD src1_sel:WORD_1
	v_subrev_u32_e32 v8, 28, v7
	v_and_b32_e32 v6, 15, v6
	v_lshlrev_b32_e32 v8, v8, v4
	v_sub_u32_e32 v7, 29, v7
	v_and_b32_e32 v8, 7, v8
	v_cmp_eq_u16_e32 vcc, 0, v6
	v_lshrrev_b16_sdwa v5, v116, v33 dst_sel:DWORD dst_unused:UNUSED_PAD src0_sel:DWORD src1_sel:WORD_1
	v_cndmask_b32_e32 v4, v4, v8, vcc
	v_cndmask_b32_e32 v6, v6, v7, vcc
	v_lshlrev_b32_e32 v4, 20, v4
	v_lshlrev_b32_e32 v5, 31, v5
	v_lshl_add_u32 v6, v6, 23, v126
	v_or3_b32 v53, v5, v6, v4
.LBB4_534:                              ;   in Loop: Header=BB4_62 Depth=1
	s_or_b64 exec, exec, s[6:7]
	v_lshrrev_b16_sdwa v4, v124, v33 dst_sel:DWORD dst_unused:UNUSED_PAD src0_sel:DWORD src1_sel:WORD_1
	v_cmp_lt_i16_e32 vcc, s24, v4
	s_mov_b64 s[4:5], 0
                                        ; implicit-def: $sgpr10
	s_and_saveexec_b64 s[6:7], vcc
	s_xor_b64 s[6:7], exec, s[6:7]
	s_cbranch_execnz .LBB4_1557
; %bb.535:                              ;   in Loop: Header=BB4_62 Depth=1
	s_or_saveexec_b64 s[6:7], s[6:7]
	v_mov_b32_e32 v54, s10
	s_xor_b64 exec, exec, s[6:7]
	s_cbranch_execnz .LBB4_1560
.LBB4_536:                              ;   in Loop: Header=BB4_62 Depth=1
	s_or_b64 exec, exec, s[6:7]
	s_and_saveexec_b64 s[6:7], s[4:5]
	s_cbranch_execz .LBB4_538
.LBB4_537:                              ;   in Loop: Header=BB4_62 Depth=1
	v_and_b32_e32 v4, 7, v4
	v_ffbh_u32_e32 v7, v4
	v_min_u32_e32 v7, 32, v7
	v_lshrrev_b16_sdwa v6, v60, v33 dst_sel:DWORD dst_unused:UNUSED_PAD src0_sel:DWORD src1_sel:WORD_1
	v_subrev_u32_e32 v8, 28, v7
	v_and_b32_e32 v6, 15, v6
	v_lshlrev_b32_e32 v8, v8, v4
	v_sub_u32_e32 v7, 29, v7
	v_and_b32_e32 v8, 7, v8
	v_cmp_eq_u16_e32 vcc, 0, v6
	v_lshrrev_b16_sdwa v5, v44, v33 dst_sel:DWORD dst_unused:UNUSED_PAD src0_sel:DWORD src1_sel:WORD_1
	v_cndmask_b32_e32 v4, v4, v8, vcc
	v_cndmask_b32_e32 v6, v6, v7, vcc
	v_lshlrev_b32_e32 v4, 20, v4
	v_lshlrev_b32_e32 v5, 31, v5
	v_lshl_add_u32 v6, v6, 23, v126
	v_or3_b32 v54, v5, v6, v4
.LBB4_538:                              ;   in Loop: Header=BB4_62 Depth=1
	s_or_b64 exec, exec, s[6:7]
	v_cmp_gt_i16_sdwa s[6:7], v34, s24 src0_sel:BYTE_0 src1_sel:DWORD
	s_mov_b64 s[4:5], 0
                                        ; implicit-def: $sgpr10
	s_and_saveexec_b64 s[8:9], s[6:7]
	s_xor_b64 s[6:7], exec, s[8:9]
	s_cbranch_execnz .LBB4_1561
; %bb.539:                              ;   in Loop: Header=BB4_62 Depth=1
	s_or_saveexec_b64 s[6:7], s[6:7]
	v_mov_b32_e32 v33, s10
	s_xor_b64 exec, exec, s[6:7]
	s_cbranch_execnz .LBB4_1564
.LBB4_540:                              ;   in Loop: Header=BB4_62 Depth=1
	s_or_b64 exec, exec, s[6:7]
	s_and_saveexec_b64 s[6:7], s[4:5]
	s_cbranch_execz .LBB4_542
.LBB4_541:                              ;   in Loop: Header=BB4_62 Depth=1
	v_and_b32_e32 v4, 7, v34
	v_ffbh_u32_e32 v7, v4
	v_min_u32_e32 v7, 32, v7
	v_lshrrev_b16_e32 v6, 3, v34
	v_subrev_u32_e32 v8, 28, v7
	v_and_b32_e32 v6, 15, v6
	v_lshlrev_b32_e32 v8, v8, v4
	v_sub_u32_e32 v7, 29, v7
	v_and_b32_e32 v8, 7, v8
	v_cmp_eq_u16_e32 vcc, 0, v6
	v_lshrrev_b16_e32 v5, 7, v34
	v_cndmask_b32_e32 v4, v4, v8, vcc
	v_cndmask_b32_e32 v6, v6, v7, vcc
	v_lshlrev_b32_e32 v4, 20, v4
	v_lshlrev_b32_e32 v5, 31, v5
	v_lshl_add_u32 v6, v6, 23, v126
	v_or3_b32 v33, v5, v6, v4
.LBB4_542:                              ;   in Loop: Header=BB4_62 Depth=1
	s_or_b64 exec, exec, s[6:7]
	v_cmp_gt_i16_sdwa s[6:7], v34, s24 src0_sel:BYTE_1 src1_sel:DWORD
	s_mov_b64 s[4:5], 0
                                        ; implicit-def: $sgpr10
	s_and_saveexec_b64 s[8:9], s[6:7]
	s_xor_b64 s[6:7], exec, s[8:9]
	s_cbranch_execnz .LBB4_1565
; %bb.543:                              ;   in Loop: Header=BB4_62 Depth=1
	s_or_saveexec_b64 s[6:7], s[6:7]
	v_mov_b32_e32 v55, s10
	s_xor_b64 exec, exec, s[6:7]
	s_cbranch_execnz .LBB4_1568
.LBB4_544:                              ;   in Loop: Header=BB4_62 Depth=1
	s_or_b64 exec, exec, s[6:7]
	s_and_saveexec_b64 s[6:7], s[4:5]
	s_cbranch_execz .LBB4_546
.LBB4_545:                              ;   in Loop: Header=BB4_62 Depth=1
	v_and_b32_sdwa v4, v34, v116 dst_sel:DWORD dst_unused:UNUSED_PAD src0_sel:BYTE_1 src1_sel:DWORD
	v_ffbh_u32_e32 v7, v4
	v_min_u32_e32 v7, 32, v7
	v_lshrrev_b16_e32 v6, 11, v34
	v_subrev_u32_e32 v8, 28, v7
	v_and_b32_e32 v6, 15, v6
	v_lshlrev_b32_e32 v8, v8, v4
	v_sub_u32_e32 v7, 29, v7
	v_and_b32_e32 v8, 7, v8
	v_cmp_eq_u16_e32 vcc, 0, v6
	v_lshrrev_b16_e32 v5, 15, v34
	v_cndmask_b32_e32 v4, v4, v8, vcc
	v_cndmask_b32_e32 v6, v6, v7, vcc
	v_lshlrev_b32_e32 v4, 20, v4
	v_lshlrev_b32_e32 v5, 31, v5
	v_lshl_add_u32 v6, v6, 23, v126
	v_or3_b32 v55, v5, v6, v4
.LBB4_546:                              ;   in Loop: Header=BB4_62 Depth=1
	s_or_b64 exec, exec, s[6:7]
	v_and_b32_sdwa v4, v34, s23 dst_sel:DWORD dst_unused:UNUSED_PAD src0_sel:WORD_1 src1_sel:DWORD
	v_cmp_lt_i16_e32 vcc, s24, v4
	s_mov_b64 s[4:5], 0
                                        ; implicit-def: $sgpr10
	s_and_saveexec_b64 s[6:7], vcc
	s_xor_b64 s[6:7], exec, s[6:7]
	s_cbranch_execnz .LBB4_1569
; %bb.547:                              ;   in Loop: Header=BB4_62 Depth=1
	s_or_saveexec_b64 s[6:7], s[6:7]
	v_mov_b32_e32 v65, s10
	s_xor_b64 exec, exec, s[6:7]
	s_cbranch_execnz .LBB4_1572
.LBB4_548:                              ;   in Loop: Header=BB4_62 Depth=1
	s_or_b64 exec, exec, s[6:7]
	s_and_saveexec_b64 s[6:7], s[4:5]
	s_cbranch_execz .LBB4_550
.LBB4_549:                              ;   in Loop: Header=BB4_62 Depth=1
	v_and_b32_sdwa v4, v34, v116 dst_sel:DWORD dst_unused:UNUSED_PAD src0_sel:WORD_1 src1_sel:DWORD
	v_ffbh_u32_e32 v7, v4
	v_min_u32_e32 v7, 32, v7
	v_lshrrev_b16_sdwa v6, v117, v34 dst_sel:DWORD dst_unused:UNUSED_PAD src0_sel:DWORD src1_sel:WORD_1
	v_subrev_u32_e32 v8, 28, v7
	v_and_b32_e32 v6, 15, v6
	v_lshlrev_b32_e32 v8, v8, v4
	v_sub_u32_e32 v7, 29, v7
	v_and_b32_e32 v8, 7, v8
	v_cmp_eq_u16_e32 vcc, 0, v6
	v_lshrrev_b16_sdwa v5, v116, v34 dst_sel:DWORD dst_unused:UNUSED_PAD src0_sel:DWORD src1_sel:WORD_1
	v_cndmask_b32_e32 v4, v4, v8, vcc
	v_cndmask_b32_e32 v6, v6, v7, vcc
	v_lshlrev_b32_e32 v4, 20, v4
	v_lshlrev_b32_e32 v5, 31, v5
	v_lshl_add_u32 v6, v6, 23, v126
	v_or3_b32 v65, v5, v6, v4
.LBB4_550:                              ;   in Loop: Header=BB4_62 Depth=1
	s_or_b64 exec, exec, s[6:7]
	v_lshrrev_b16_sdwa v5, v124, v34 dst_sel:DWORD dst_unused:UNUSED_PAD src0_sel:DWORD src1_sel:WORD_1
	v_cmp_lt_i16_e32 vcc, s24, v5
	s_mov_b64 s[4:5], 0
                                        ; implicit-def: $sgpr10
	s_and_saveexec_b64 s[6:7], vcc
	s_xor_b64 s[6:7], exec, s[6:7]
	s_cbranch_execnz .LBB4_1573
; %bb.551:                              ;   in Loop: Header=BB4_62 Depth=1
	s_or_saveexec_b64 s[6:7], s[6:7]
	v_mov_b32_e32 v4, s10
	s_xor_b64 exec, exec, s[6:7]
	s_cbranch_execnz .LBB4_1576
.LBB4_552:                              ;   in Loop: Header=BB4_62 Depth=1
	s_or_b64 exec, exec, s[6:7]
	s_and_saveexec_b64 s[6:7], s[4:5]
	s_cbranch_execz .LBB4_554
.LBB4_553:                              ;   in Loop: Header=BB4_62 Depth=1
	v_and_b32_e32 v4, 7, v5
	v_ffbh_u32_e32 v7, v4
	v_min_u32_e32 v7, 32, v7
	v_lshrrev_b16_sdwa v6, v60, v34 dst_sel:DWORD dst_unused:UNUSED_PAD src0_sel:DWORD src1_sel:WORD_1
	v_subrev_u32_e32 v8, 28, v7
	v_and_b32_e32 v6, 15, v6
	v_lshlrev_b32_e32 v8, v8, v4
	v_sub_u32_e32 v7, 29, v7
	v_and_b32_e32 v8, 7, v8
	v_cmp_eq_u16_e32 vcc, 0, v6
	v_lshrrev_b16_sdwa v5, v44, v34 dst_sel:DWORD dst_unused:UNUSED_PAD src0_sel:DWORD src1_sel:WORD_1
	v_cndmask_b32_e32 v4, v4, v8, vcc
	v_cndmask_b32_e32 v6, v6, v7, vcc
	v_lshlrev_b32_e32 v4, 20, v4
	v_lshlrev_b32_e32 v5, 31, v5
	v_lshl_add_u32 v6, v6, 23, v126
	v_or3_b32 v4, v5, v6, v4
.LBB4_554:                              ;   in Loop: Header=BB4_62 Depth=1
	s_or_b64 exec, exec, s[6:7]
	v_cmp_gt_i16_sdwa s[6:7], v35, s24 src0_sel:BYTE_0 src1_sel:DWORD
	s_mov_b64 s[4:5], 0
                                        ; implicit-def: $sgpr10
	s_and_saveexec_b64 s[8:9], s[6:7]
	s_xor_b64 s[6:7], exec, s[8:9]
	s_cbranch_execnz .LBB4_1577
; %bb.555:                              ;   in Loop: Header=BB4_62 Depth=1
	s_or_saveexec_b64 s[6:7], s[6:7]
	v_mov_b32_e32 v5, s10
	s_xor_b64 exec, exec, s[6:7]
	s_cbranch_execnz .LBB4_1580
.LBB4_556:                              ;   in Loop: Header=BB4_62 Depth=1
	s_or_b64 exec, exec, s[6:7]
	s_and_saveexec_b64 s[6:7], s[4:5]
	s_cbranch_execz .LBB4_558
.LBB4_557:                              ;   in Loop: Header=BB4_62 Depth=1
	v_and_b32_e32 v5, 7, v35
	v_ffbh_u32_e32 v8, v5
	v_min_u32_e32 v8, 32, v8
	v_lshrrev_b16_e32 v7, 3, v35
	v_subrev_u32_e32 v9, 28, v8
	v_and_b32_e32 v7, 15, v7
	v_lshlrev_b32_e32 v9, v9, v5
	v_sub_u32_e32 v8, 29, v8
	v_and_b32_e32 v9, 7, v9
	v_cmp_eq_u16_e32 vcc, 0, v7
	v_lshrrev_b16_e32 v6, 7, v35
	v_cndmask_b32_e32 v5, v5, v9, vcc
	v_cndmask_b32_e32 v7, v7, v8, vcc
	v_lshlrev_b32_e32 v5, 20, v5
	v_lshlrev_b32_e32 v6, 31, v6
	v_lshl_add_u32 v7, v7, 23, v126
	v_or3_b32 v5, v6, v7, v5
.LBB4_558:                              ;   in Loop: Header=BB4_62 Depth=1
	s_or_b64 exec, exec, s[6:7]
	v_cmp_gt_i16_sdwa s[6:7], v35, s24 src0_sel:BYTE_1 src1_sel:DWORD
	s_mov_b64 s[4:5], 0
                                        ; implicit-def: $sgpr10
	s_and_saveexec_b64 s[8:9], s[6:7]
	s_xor_b64 s[6:7], exec, s[8:9]
	s_cbranch_execnz .LBB4_1581
; %bb.559:                              ;   in Loop: Header=BB4_62 Depth=1
	s_or_saveexec_b64 s[6:7], s[6:7]
	v_mov_b32_e32 v6, s10
	s_xor_b64 exec, exec, s[6:7]
	s_cbranch_execnz .LBB4_1584
.LBB4_560:                              ;   in Loop: Header=BB4_62 Depth=1
	s_or_b64 exec, exec, s[6:7]
	s_and_saveexec_b64 s[6:7], s[4:5]
	s_cbranch_execz .LBB4_562
.LBB4_561:                              ;   in Loop: Header=BB4_62 Depth=1
	v_and_b32_sdwa v6, v35, v116 dst_sel:DWORD dst_unused:UNUSED_PAD src0_sel:BYTE_1 src1_sel:DWORD
	v_ffbh_u32_e32 v9, v6
	v_min_u32_e32 v9, 32, v9
	v_lshrrev_b16_e32 v8, 11, v35
	v_subrev_u32_e32 v10, 28, v9
	v_and_b32_e32 v8, 15, v8
	v_lshlrev_b32_e32 v10, v10, v6
	v_sub_u32_e32 v9, 29, v9
	v_and_b32_e32 v10, 7, v10
	v_cmp_eq_u16_e32 vcc, 0, v8
	v_lshrrev_b16_e32 v7, 15, v35
	v_cndmask_b32_e32 v6, v6, v10, vcc
	v_cndmask_b32_e32 v8, v8, v9, vcc
	v_lshlrev_b32_e32 v6, 20, v6
	v_lshlrev_b32_e32 v7, 31, v7
	v_lshl_add_u32 v8, v8, 23, v126
	v_or3_b32 v6, v7, v8, v6
.LBB4_562:                              ;   in Loop: Header=BB4_62 Depth=1
	s_or_b64 exec, exec, s[6:7]
	v_and_b32_sdwa v8, v35, s23 dst_sel:DWORD dst_unused:UNUSED_PAD src0_sel:WORD_1 src1_sel:DWORD
	v_cmp_lt_i16_e32 vcc, s24, v8
	s_mov_b64 s[4:5], 0
                                        ; implicit-def: $sgpr10
	s_and_saveexec_b64 s[6:7], vcc
	s_xor_b64 s[6:7], exec, s[6:7]
	s_cbranch_execnz .LBB4_1585
; %bb.563:                              ;   in Loop: Header=BB4_62 Depth=1
	s_or_saveexec_b64 s[6:7], s[6:7]
	v_mov_b32_e32 v7, s10
	s_xor_b64 exec, exec, s[6:7]
	s_cbranch_execnz .LBB4_1588
.LBB4_564:                              ;   in Loop: Header=BB4_62 Depth=1
	s_or_b64 exec, exec, s[6:7]
	s_and_saveexec_b64 s[6:7], s[4:5]
	s_cbranch_execz .LBB4_566
.LBB4_565:                              ;   in Loop: Header=BB4_62 Depth=1
	v_and_b32_sdwa v7, v35, v116 dst_sel:DWORD dst_unused:UNUSED_PAD src0_sel:WORD_1 src1_sel:DWORD
	v_ffbh_u32_e32 v10, v7
	v_min_u32_e32 v10, 32, v10
	v_lshrrev_b16_sdwa v9, v117, v35 dst_sel:DWORD dst_unused:UNUSED_PAD src0_sel:DWORD src1_sel:WORD_1
	v_subrev_u32_e32 v11, 28, v10
	v_and_b32_e32 v9, 15, v9
	v_lshlrev_b32_e32 v11, v11, v7
	v_sub_u32_e32 v10, 29, v10
	v_and_b32_e32 v11, 7, v11
	v_cmp_eq_u16_e32 vcc, 0, v9
	v_lshrrev_b16_sdwa v8, v116, v35 dst_sel:DWORD dst_unused:UNUSED_PAD src0_sel:DWORD src1_sel:WORD_1
	v_cndmask_b32_e32 v7, v7, v11, vcc
	v_cndmask_b32_e32 v9, v9, v10, vcc
	v_lshlrev_b32_e32 v7, 20, v7
	v_lshlrev_b32_e32 v8, 31, v8
	v_lshl_add_u32 v9, v9, 23, v126
	v_or3_b32 v7, v8, v9, v7
.LBB4_566:                              ;   in Loop: Header=BB4_62 Depth=1
	s_or_b64 exec, exec, s[6:7]
	v_lshrrev_b16_sdwa v34, v124, v35 dst_sel:DWORD dst_unused:UNUSED_PAD src0_sel:DWORD src1_sel:WORD_1
	v_cmp_lt_i16_e32 vcc, s24, v34
	s_mov_b64 s[4:5], 0
                                        ; implicit-def: $sgpr10
	s_and_saveexec_b64 s[6:7], vcc
	s_xor_b64 s[6:7], exec, s[6:7]
	s_cbranch_execnz .LBB4_1589
; %bb.567:                              ;   in Loop: Header=BB4_62 Depth=1
	s_or_saveexec_b64 s[6:7], s[6:7]
	v_mov_b32_e32 v66, s10
	s_xor_b64 exec, exec, s[6:7]
	s_cbranch_execnz .LBB4_1592
.LBB4_568:                              ;   in Loop: Header=BB4_62 Depth=1
	s_or_b64 exec, exec, s[6:7]
	s_and_saveexec_b64 s[6:7], s[4:5]
	s_cbranch_execz .LBB4_570
.LBB4_569:                              ;   in Loop: Header=BB4_62 Depth=1
	v_and_b32_e32 v8, 7, v34
	v_ffbh_u32_e32 v11, v8
	v_min_u32_e32 v11, 32, v11
	v_lshrrev_b16_sdwa v10, v60, v35 dst_sel:DWORD dst_unused:UNUSED_PAD src0_sel:DWORD src1_sel:WORD_1
	v_subrev_u32_e32 v34, 28, v11
	v_and_b32_e32 v10, 15, v10
	v_lshlrev_b32_e32 v34, v34, v8
	v_sub_u32_e32 v11, 29, v11
	v_and_b32_e32 v34, 7, v34
	v_cmp_eq_u16_e32 vcc, 0, v10
	v_lshrrev_b16_sdwa v9, v44, v35 dst_sel:DWORD dst_unused:UNUSED_PAD src0_sel:DWORD src1_sel:WORD_1
	v_cndmask_b32_e32 v8, v8, v34, vcc
	v_cndmask_b32_e32 v10, v10, v11, vcc
	v_lshlrev_b32_e32 v8, 20, v8
	v_lshlrev_b32_e32 v9, 31, v9
	v_lshl_add_u32 v10, v10, 23, v126
	v_or3_b32 v66, v9, v10, v8
.LBB4_570:                              ;   in Loop: Header=BB4_62 Depth=1
	s_or_b64 exec, exec, s[6:7]
	v_cvt_pkrtz_f16_f32 v0, v0, v1
	v_cvt_pkrtz_f16_f32 v1, v2, v3
	;; [unrolled: 1-line block ×8, first 2 shown]
	buffer_store_dword v1, off, s[0:3], s33 offset:196
	buffer_store_dword v0, off, s[0:3], s33 offset:192
	;; [unrolled: 1-line block ×8, first 2 shown]
	v_accvgpr_read_b32 v0, a34
	v_accvgpr_read_b32 v1, a35
	flat_load_dword v61, v[0:1]
	v_add_u32_e32 v0, v51, v64
	v_xor_b32_e32 v0, v50, v0
	v_sub_u32_e32 v1, v49, v48
	v_sub_u32_e32 v0, v0, v38
	v_add_u32_e32 v1, v1, v39
	v_lshlrev_b32_e32 v0, 4, v0
	s_mov_b64 s[4:5], 0
                                        ; implicit-def: $sgpr10
	s_waitcnt vmcnt(0) lgkmcnt(0)
	v_add3_u32 v0, v1, v0, v61
	v_ashrrev_i32_e32 v1, 31, v0
	v_add_co_u32_e32 v0, vcc, v36, v0
	v_addc_co_u32_e32 v1, vcc, v37, v1, vcc
	flat_load_dwordx4 v[32:35], v[0:1]
	s_waitcnt vmcnt(0) lgkmcnt(0)
	v_cmp_gt_i16_sdwa s[6:7], v32, s24 src0_sel:BYTE_0 src1_sel:DWORD
	s_and_saveexec_b64 s[8:9], s[6:7]
	s_xor_b64 s[6:7], exec, s[8:9]
	s_cbranch_execnz .LBB4_1593
; %bb.571:                              ;   in Loop: Header=BB4_62 Depth=1
	s_or_saveexec_b64 s[6:7], s[6:7]
	v_mov_b32_e32 v0, s10
	s_xor_b64 exec, exec, s[6:7]
	s_cbranch_execnz .LBB4_1596
.LBB4_572:                              ;   in Loop: Header=BB4_62 Depth=1
	s_or_b64 exec, exec, s[6:7]
	s_and_saveexec_b64 s[6:7], s[4:5]
	s_cbranch_execz .LBB4_574
.LBB4_573:                              ;   in Loop: Header=BB4_62 Depth=1
	v_and_b32_e32 v0, 7, v32
	v_ffbh_u32_e32 v3, v0
	v_min_u32_e32 v3, 32, v3
	v_lshrrev_b16_e32 v2, 3, v32
	v_subrev_u32_e32 v4, 28, v3
	v_and_b32_e32 v2, 15, v2
	v_lshlrev_b32_e32 v4, v4, v0
	v_sub_u32_e32 v3, 29, v3
	v_and_b32_e32 v4, 7, v4
	v_cmp_eq_u16_e32 vcc, 0, v2
	v_lshrrev_b16_e32 v1, 7, v32
	v_cndmask_b32_e32 v0, v0, v4, vcc
	v_cndmask_b32_e32 v2, v2, v3, vcc
	v_lshlrev_b32_e32 v0, 20, v0
	v_lshlrev_b32_e32 v1, 31, v1
	v_lshl_add_u32 v2, v2, 23, v126
	v_or3_b32 v0, v1, v2, v0
.LBB4_574:                              ;   in Loop: Header=BB4_62 Depth=1
	s_or_b64 exec, exec, s[6:7]
	v_cmp_gt_i16_sdwa s[6:7], v32, s24 src0_sel:BYTE_1 src1_sel:DWORD
	s_mov_b64 s[4:5], 0
                                        ; implicit-def: $sgpr10
	s_and_saveexec_b64 s[8:9], s[6:7]
	s_xor_b64 s[6:7], exec, s[8:9]
	s_cbranch_execnz .LBB4_1597
; %bb.575:                              ;   in Loop: Header=BB4_62 Depth=1
	s_or_saveexec_b64 s[6:7], s[6:7]
	v_mov_b32_e32 v1, s10
	s_xor_b64 exec, exec, s[6:7]
	s_cbranch_execnz .LBB4_1600
.LBB4_576:                              ;   in Loop: Header=BB4_62 Depth=1
	s_or_b64 exec, exec, s[6:7]
	s_and_saveexec_b64 s[6:7], s[4:5]
	s_cbranch_execz .LBB4_578
.LBB4_577:                              ;   in Loop: Header=BB4_62 Depth=1
	v_and_b32_sdwa v1, v32, v116 dst_sel:DWORD dst_unused:UNUSED_PAD src0_sel:BYTE_1 src1_sel:DWORD
	v_ffbh_u32_e32 v4, v1
	v_min_u32_e32 v4, 32, v4
	v_lshrrev_b16_e32 v3, 11, v32
	v_subrev_u32_e32 v5, 28, v4
	v_and_b32_e32 v3, 15, v3
	v_lshlrev_b32_e32 v5, v5, v1
	v_sub_u32_e32 v4, 29, v4
	v_and_b32_e32 v5, 7, v5
	v_cmp_eq_u16_e32 vcc, 0, v3
	v_lshrrev_b16_e32 v2, 15, v32
	v_cndmask_b32_e32 v1, v1, v5, vcc
	v_cndmask_b32_e32 v3, v3, v4, vcc
	v_lshlrev_b32_e32 v1, 20, v1
	v_lshlrev_b32_e32 v2, 31, v2
	v_lshl_add_u32 v3, v3, 23, v126
	v_or3_b32 v1, v2, v3, v1
.LBB4_578:                              ;   in Loop: Header=BB4_62 Depth=1
	s_or_b64 exec, exec, s[6:7]
	v_and_b32_sdwa v3, v32, s23 dst_sel:DWORD dst_unused:UNUSED_PAD src0_sel:WORD_1 src1_sel:DWORD
	v_cmp_lt_i16_e32 vcc, s24, v3
	s_mov_b64 s[4:5], 0
                                        ; implicit-def: $sgpr10
	s_and_saveexec_b64 s[6:7], vcc
	s_xor_b64 s[6:7], exec, s[6:7]
	s_cbranch_execnz .LBB4_1601
; %bb.579:                              ;   in Loop: Header=BB4_62 Depth=1
	s_or_saveexec_b64 s[6:7], s[6:7]
	v_mov_b32_e32 v2, s10
	s_xor_b64 exec, exec, s[6:7]
	s_cbranch_execnz .LBB4_1604
.LBB4_580:                              ;   in Loop: Header=BB4_62 Depth=1
	s_or_b64 exec, exec, s[6:7]
	s_and_saveexec_b64 s[6:7], s[4:5]
	s_cbranch_execz .LBB4_582
.LBB4_581:                              ;   in Loop: Header=BB4_62 Depth=1
	v_and_b32_sdwa v2, v32, v116 dst_sel:DWORD dst_unused:UNUSED_PAD src0_sel:WORD_1 src1_sel:DWORD
	v_ffbh_u32_e32 v5, v2
	v_min_u32_e32 v5, 32, v5
	v_lshrrev_b16_sdwa v4, v117, v32 dst_sel:DWORD dst_unused:UNUSED_PAD src0_sel:DWORD src1_sel:WORD_1
	v_subrev_u32_e32 v6, 28, v5
	v_and_b32_e32 v4, 15, v4
	v_lshlrev_b32_e32 v6, v6, v2
	v_sub_u32_e32 v5, 29, v5
	v_and_b32_e32 v6, 7, v6
	v_cmp_eq_u16_e32 vcc, 0, v4
	v_lshrrev_b16_sdwa v3, v116, v32 dst_sel:DWORD dst_unused:UNUSED_PAD src0_sel:DWORD src1_sel:WORD_1
	v_cndmask_b32_e32 v2, v2, v6, vcc
	v_cndmask_b32_e32 v4, v4, v5, vcc
	v_lshlrev_b32_e32 v2, 20, v2
	v_lshlrev_b32_e32 v3, 31, v3
	v_lshl_add_u32 v4, v4, 23, v126
	v_or3_b32 v2, v3, v4, v2
.LBB4_582:                              ;   in Loop: Header=BB4_62 Depth=1
	s_or_b64 exec, exec, s[6:7]
	v_lshrrev_b16_sdwa v4, v124, v32 dst_sel:DWORD dst_unused:UNUSED_PAD src0_sel:DWORD src1_sel:WORD_1
	v_cmp_lt_i16_e32 vcc, s24, v4
	s_mov_b64 s[4:5], 0
                                        ; implicit-def: $sgpr10
	s_and_saveexec_b64 s[6:7], vcc
	s_xor_b64 s[6:7], exec, s[6:7]
	s_cbranch_execnz .LBB4_1605
; %bb.583:                              ;   in Loop: Header=BB4_62 Depth=1
	s_or_saveexec_b64 s[6:7], s[6:7]
	v_mov_b32_e32 v3, s10
	s_xor_b64 exec, exec, s[6:7]
	s_cbranch_execnz .LBB4_1608
.LBB4_584:                              ;   in Loop: Header=BB4_62 Depth=1
	s_or_b64 exec, exec, s[6:7]
	s_and_saveexec_b64 s[6:7], s[4:5]
	s_cbranch_execz .LBB4_586
.LBB4_585:                              ;   in Loop: Header=BB4_62 Depth=1
	v_and_b32_e32 v3, 7, v4
	v_ffbh_u32_e32 v6, v3
	v_min_u32_e32 v6, 32, v6
	v_lshrrev_b16_sdwa v5, v60, v32 dst_sel:DWORD dst_unused:UNUSED_PAD src0_sel:DWORD src1_sel:WORD_1
	v_subrev_u32_e32 v7, 28, v6
	v_and_b32_e32 v5, 15, v5
	v_lshlrev_b32_e32 v7, v7, v3
	v_sub_u32_e32 v6, 29, v6
	v_and_b32_e32 v7, 7, v7
	v_cmp_eq_u16_e32 vcc, 0, v5
	v_lshrrev_b16_sdwa v4, v44, v32 dst_sel:DWORD dst_unused:UNUSED_PAD src0_sel:DWORD src1_sel:WORD_1
	v_cndmask_b32_e32 v3, v3, v7, vcc
	v_cndmask_b32_e32 v5, v5, v6, vcc
	v_lshlrev_b32_e32 v3, 20, v3
	v_lshlrev_b32_e32 v4, 31, v4
	v_lshl_add_u32 v5, v5, 23, v126
	v_or3_b32 v3, v4, v5, v3
.LBB4_586:                              ;   in Loop: Header=BB4_62 Depth=1
	s_or_b64 exec, exec, s[6:7]
	v_cmp_gt_i16_sdwa s[6:7], v33, s24 src0_sel:BYTE_0 src1_sel:DWORD
	s_mov_b64 s[4:5], 0
                                        ; implicit-def: $sgpr10
	s_and_saveexec_b64 s[8:9], s[6:7]
	s_xor_b64 s[6:7], exec, s[8:9]
	s_cbranch_execnz .LBB4_1609
; %bb.587:                              ;   in Loop: Header=BB4_62 Depth=1
	s_or_saveexec_b64 s[6:7], s[6:7]
	v_mov_b32_e32 v32, s10
	s_xor_b64 exec, exec, s[6:7]
	s_cbranch_execnz .LBB4_1612
.LBB4_588:                              ;   in Loop: Header=BB4_62 Depth=1
	s_or_b64 exec, exec, s[6:7]
	s_and_saveexec_b64 s[6:7], s[4:5]
	s_cbranch_execz .LBB4_590
.LBB4_589:                              ;   in Loop: Header=BB4_62 Depth=1
	v_and_b32_e32 v4, 7, v33
	v_ffbh_u32_e32 v7, v4
	v_min_u32_e32 v7, 32, v7
	v_lshrrev_b16_e32 v6, 3, v33
	v_subrev_u32_e32 v8, 28, v7
	v_and_b32_e32 v6, 15, v6
	v_lshlrev_b32_e32 v8, v8, v4
	v_sub_u32_e32 v7, 29, v7
	v_and_b32_e32 v8, 7, v8
	v_cmp_eq_u16_e32 vcc, 0, v6
	v_lshrrev_b16_e32 v5, 7, v33
	v_cndmask_b32_e32 v4, v4, v8, vcc
	v_cndmask_b32_e32 v6, v6, v7, vcc
	v_lshlrev_b32_e32 v4, 20, v4
	v_lshlrev_b32_e32 v5, 31, v5
	v_lshl_add_u32 v6, v6, 23, v126
	v_or3_b32 v32, v5, v6, v4
.LBB4_590:                              ;   in Loop: Header=BB4_62 Depth=1
	s_or_b64 exec, exec, s[6:7]
	v_cmp_gt_i16_sdwa s[6:7], v33, s24 src0_sel:BYTE_1 src1_sel:DWORD
	s_mov_b64 s[4:5], 0
                                        ; implicit-def: $sgpr10
	s_and_saveexec_b64 s[8:9], s[6:7]
	s_xor_b64 s[6:7], exec, s[8:9]
	s_cbranch_execnz .LBB4_1613
; %bb.591:                              ;   in Loop: Header=BB4_62 Depth=1
	s_or_saveexec_b64 s[6:7], s[6:7]
	v_mov_b32_e32 v36, s10
	s_xor_b64 exec, exec, s[6:7]
	s_cbranch_execnz .LBB4_1616
.LBB4_592:                              ;   in Loop: Header=BB4_62 Depth=1
	s_or_b64 exec, exec, s[6:7]
	s_and_saveexec_b64 s[6:7], s[4:5]
	s_cbranch_execz .LBB4_594
.LBB4_593:                              ;   in Loop: Header=BB4_62 Depth=1
	v_and_b32_sdwa v4, v33, v116 dst_sel:DWORD dst_unused:UNUSED_PAD src0_sel:BYTE_1 src1_sel:DWORD
	v_ffbh_u32_e32 v7, v4
	v_min_u32_e32 v7, 32, v7
	v_lshrrev_b16_e32 v6, 11, v33
	v_subrev_u32_e32 v8, 28, v7
	v_and_b32_e32 v6, 15, v6
	v_lshlrev_b32_e32 v8, v8, v4
	v_sub_u32_e32 v7, 29, v7
	v_and_b32_e32 v8, 7, v8
	v_cmp_eq_u16_e32 vcc, 0, v6
	v_lshrrev_b16_e32 v5, 15, v33
	v_cndmask_b32_e32 v4, v4, v8, vcc
	v_cndmask_b32_e32 v6, v6, v7, vcc
	v_lshlrev_b32_e32 v4, 20, v4
	v_lshlrev_b32_e32 v5, 31, v5
	v_lshl_add_u32 v6, v6, 23, v126
	v_or3_b32 v36, v5, v6, v4
.LBB4_594:                              ;   in Loop: Header=BB4_62 Depth=1
	s_or_b64 exec, exec, s[6:7]
	v_and_b32_sdwa v4, v33, s23 dst_sel:DWORD dst_unused:UNUSED_PAD src0_sel:WORD_1 src1_sel:DWORD
	v_cmp_lt_i16_e32 vcc, s24, v4
	s_mov_b64 s[4:5], 0
                                        ; implicit-def: $sgpr10
	s_and_saveexec_b64 s[6:7], vcc
	s_xor_b64 s[6:7], exec, s[6:7]
	s_cbranch_execnz .LBB4_1617
; %bb.595:                              ;   in Loop: Header=BB4_62 Depth=1
	s_or_saveexec_b64 s[6:7], s[6:7]
	v_mov_b32_e32 v37, s10
	s_xor_b64 exec, exec, s[6:7]
	s_cbranch_execnz .LBB4_1620
.LBB4_596:                              ;   in Loop: Header=BB4_62 Depth=1
	s_or_b64 exec, exec, s[6:7]
	s_and_saveexec_b64 s[6:7], s[4:5]
	s_cbranch_execz .LBB4_598
.LBB4_597:                              ;   in Loop: Header=BB4_62 Depth=1
	v_and_b32_sdwa v4, v33, v116 dst_sel:DWORD dst_unused:UNUSED_PAD src0_sel:WORD_1 src1_sel:DWORD
	v_ffbh_u32_e32 v7, v4
	v_min_u32_e32 v7, 32, v7
	v_lshrrev_b16_sdwa v6, v117, v33 dst_sel:DWORD dst_unused:UNUSED_PAD src0_sel:DWORD src1_sel:WORD_1
	v_subrev_u32_e32 v8, 28, v7
	v_and_b32_e32 v6, 15, v6
	v_lshlrev_b32_e32 v8, v8, v4
	v_sub_u32_e32 v7, 29, v7
	v_and_b32_e32 v8, 7, v8
	v_cmp_eq_u16_e32 vcc, 0, v6
	v_lshrrev_b16_sdwa v5, v116, v33 dst_sel:DWORD dst_unused:UNUSED_PAD src0_sel:DWORD src1_sel:WORD_1
	v_cndmask_b32_e32 v4, v4, v8, vcc
	v_cndmask_b32_e32 v6, v6, v7, vcc
	v_lshlrev_b32_e32 v4, 20, v4
	v_lshlrev_b32_e32 v5, 31, v5
	v_lshl_add_u32 v6, v6, 23, v126
	v_or3_b32 v37, v5, v6, v4
.LBB4_598:                              ;   in Loop: Header=BB4_62 Depth=1
	s_or_b64 exec, exec, s[6:7]
	v_lshrrev_b16_sdwa v4, v124, v33 dst_sel:DWORD dst_unused:UNUSED_PAD src0_sel:DWORD src1_sel:WORD_1
	v_cmp_lt_i16_e32 vcc, s24, v4
	s_mov_b64 s[4:5], 0
                                        ; implicit-def: $sgpr10
	s_and_saveexec_b64 s[6:7], vcc
	s_xor_b64 s[6:7], exec, s[6:7]
	s_cbranch_execnz .LBB4_1621
; %bb.599:                              ;   in Loop: Header=BB4_62 Depth=1
	s_or_saveexec_b64 s[6:7], s[6:7]
	v_mov_b32_e32 v38, s10
	s_xor_b64 exec, exec, s[6:7]
	s_cbranch_execnz .LBB4_1624
.LBB4_600:                              ;   in Loop: Header=BB4_62 Depth=1
	s_or_b64 exec, exec, s[6:7]
	s_and_saveexec_b64 s[6:7], s[4:5]
	s_cbranch_execz .LBB4_602
.LBB4_601:                              ;   in Loop: Header=BB4_62 Depth=1
	v_and_b32_e32 v4, 7, v4
	v_ffbh_u32_e32 v7, v4
	v_min_u32_e32 v7, 32, v7
	v_lshrrev_b16_sdwa v6, v60, v33 dst_sel:DWORD dst_unused:UNUSED_PAD src0_sel:DWORD src1_sel:WORD_1
	v_subrev_u32_e32 v8, 28, v7
	v_and_b32_e32 v6, 15, v6
	v_lshlrev_b32_e32 v8, v8, v4
	v_sub_u32_e32 v7, 29, v7
	v_and_b32_e32 v8, 7, v8
	v_cmp_eq_u16_e32 vcc, 0, v6
	v_lshrrev_b16_sdwa v5, v44, v33 dst_sel:DWORD dst_unused:UNUSED_PAD src0_sel:DWORD src1_sel:WORD_1
	v_cndmask_b32_e32 v4, v4, v8, vcc
	v_cndmask_b32_e32 v6, v6, v7, vcc
	v_lshlrev_b32_e32 v4, 20, v4
	v_lshlrev_b32_e32 v5, 31, v5
	v_lshl_add_u32 v6, v6, 23, v126
	v_or3_b32 v38, v5, v6, v4
.LBB4_602:                              ;   in Loop: Header=BB4_62 Depth=1
	s_or_b64 exec, exec, s[6:7]
	v_cmp_gt_i16_sdwa s[6:7], v34, s24 src0_sel:BYTE_0 src1_sel:DWORD
	s_mov_b64 s[4:5], 0
                                        ; implicit-def: $sgpr10
	s_and_saveexec_b64 s[8:9], s[6:7]
	s_xor_b64 s[6:7], exec, s[8:9]
	s_cbranch_execnz .LBB4_1625
; %bb.603:                              ;   in Loop: Header=BB4_62 Depth=1
	s_or_saveexec_b64 s[6:7], s[6:7]
	v_mov_b32_e32 v33, s10
	s_xor_b64 exec, exec, s[6:7]
	s_cbranch_execnz .LBB4_1628
.LBB4_604:                              ;   in Loop: Header=BB4_62 Depth=1
	s_or_b64 exec, exec, s[6:7]
	s_and_saveexec_b64 s[6:7], s[4:5]
	s_cbranch_execz .LBB4_606
.LBB4_605:                              ;   in Loop: Header=BB4_62 Depth=1
	v_and_b32_e32 v4, 7, v34
	v_ffbh_u32_e32 v7, v4
	v_min_u32_e32 v7, 32, v7
	v_lshrrev_b16_e32 v6, 3, v34
	v_subrev_u32_e32 v8, 28, v7
	v_and_b32_e32 v6, 15, v6
	v_lshlrev_b32_e32 v8, v8, v4
	v_sub_u32_e32 v7, 29, v7
	v_and_b32_e32 v8, 7, v8
	v_cmp_eq_u16_e32 vcc, 0, v6
	v_lshrrev_b16_e32 v5, 7, v34
	v_cndmask_b32_e32 v4, v4, v8, vcc
	v_cndmask_b32_e32 v6, v6, v7, vcc
	v_lshlrev_b32_e32 v4, 20, v4
	v_lshlrev_b32_e32 v5, 31, v5
	v_lshl_add_u32 v6, v6, 23, v126
	v_or3_b32 v33, v5, v6, v4
.LBB4_606:                              ;   in Loop: Header=BB4_62 Depth=1
	s_or_b64 exec, exec, s[6:7]
	v_cmp_gt_i16_sdwa s[6:7], v34, s24 src0_sel:BYTE_1 src1_sel:DWORD
	s_mov_b64 s[4:5], 0
                                        ; implicit-def: $sgpr10
	s_and_saveexec_b64 s[8:9], s[6:7]
	s_xor_b64 s[6:7], exec, s[8:9]
	s_cbranch_execnz .LBB4_1629
; %bb.607:                              ;   in Loop: Header=BB4_62 Depth=1
	s_or_saveexec_b64 s[6:7], s[6:7]
	v_mov_b32_e32 v39, s10
	s_xor_b64 exec, exec, s[6:7]
	s_cbranch_execnz .LBB4_1632
.LBB4_608:                              ;   in Loop: Header=BB4_62 Depth=1
	s_or_b64 exec, exec, s[6:7]
	s_and_saveexec_b64 s[6:7], s[4:5]
	s_cbranch_execz .LBB4_610
.LBB4_609:                              ;   in Loop: Header=BB4_62 Depth=1
	v_and_b32_sdwa v4, v34, v116 dst_sel:DWORD dst_unused:UNUSED_PAD src0_sel:BYTE_1 src1_sel:DWORD
	v_ffbh_u32_e32 v7, v4
	v_min_u32_e32 v7, 32, v7
	v_lshrrev_b16_e32 v6, 11, v34
	v_subrev_u32_e32 v8, 28, v7
	v_and_b32_e32 v6, 15, v6
	v_lshlrev_b32_e32 v8, v8, v4
	v_sub_u32_e32 v7, 29, v7
	v_and_b32_e32 v8, 7, v8
	v_cmp_eq_u16_e32 vcc, 0, v6
	v_lshrrev_b16_e32 v5, 15, v34
	v_cndmask_b32_e32 v4, v4, v8, vcc
	v_cndmask_b32_e32 v6, v6, v7, vcc
	v_lshlrev_b32_e32 v4, 20, v4
	v_lshlrev_b32_e32 v5, 31, v5
	v_lshl_add_u32 v6, v6, 23, v126
	v_or3_b32 v39, v5, v6, v4
.LBB4_610:                              ;   in Loop: Header=BB4_62 Depth=1
	s_or_b64 exec, exec, s[6:7]
	v_and_b32_sdwa v4, v34, s23 dst_sel:DWORD dst_unused:UNUSED_PAD src0_sel:WORD_1 src1_sel:DWORD
	v_cmp_lt_i16_e32 vcc, s24, v4
	s_mov_b64 s[4:5], 0
                                        ; implicit-def: $sgpr10
	s_and_saveexec_b64 s[6:7], vcc
	s_xor_b64 s[6:7], exec, s[6:7]
	s_cbranch_execnz .LBB4_1633
; %bb.611:                              ;   in Loop: Header=BB4_62 Depth=1
	s_or_saveexec_b64 s[6:7], s[6:7]
	v_mov_b32_e32 v48, s10
	s_xor_b64 exec, exec, s[6:7]
	s_cbranch_execnz .LBB4_1636
.LBB4_612:                              ;   in Loop: Header=BB4_62 Depth=1
	s_or_b64 exec, exec, s[6:7]
	s_and_saveexec_b64 s[6:7], s[4:5]
	s_cbranch_execz .LBB4_614
.LBB4_613:                              ;   in Loop: Header=BB4_62 Depth=1
	v_and_b32_sdwa v4, v34, v116 dst_sel:DWORD dst_unused:UNUSED_PAD src0_sel:WORD_1 src1_sel:DWORD
	v_ffbh_u32_e32 v7, v4
	v_min_u32_e32 v7, 32, v7
	v_lshrrev_b16_sdwa v6, v117, v34 dst_sel:DWORD dst_unused:UNUSED_PAD src0_sel:DWORD src1_sel:WORD_1
	v_subrev_u32_e32 v8, 28, v7
	v_and_b32_e32 v6, 15, v6
	v_lshlrev_b32_e32 v8, v8, v4
	v_sub_u32_e32 v7, 29, v7
	v_and_b32_e32 v8, 7, v8
	v_cmp_eq_u16_e32 vcc, 0, v6
	v_lshrrev_b16_sdwa v5, v116, v34 dst_sel:DWORD dst_unused:UNUSED_PAD src0_sel:DWORD src1_sel:WORD_1
	v_cndmask_b32_e32 v4, v4, v8, vcc
	v_cndmask_b32_e32 v6, v6, v7, vcc
	v_lshlrev_b32_e32 v4, 20, v4
	v_lshlrev_b32_e32 v5, 31, v5
	v_lshl_add_u32 v6, v6, 23, v126
	v_or3_b32 v48, v5, v6, v4
.LBB4_614:                              ;   in Loop: Header=BB4_62 Depth=1
	s_or_b64 exec, exec, s[6:7]
	v_lshrrev_b16_sdwa v5, v124, v34 dst_sel:DWORD dst_unused:UNUSED_PAD src0_sel:DWORD src1_sel:WORD_1
	v_cmp_lt_i16_e32 vcc, s24, v5
	s_mov_b64 s[4:5], 0
                                        ; implicit-def: $sgpr10
	s_and_saveexec_b64 s[6:7], vcc
	s_xor_b64 s[6:7], exec, s[6:7]
	s_cbranch_execnz .LBB4_1637
; %bb.615:                              ;   in Loop: Header=BB4_62 Depth=1
	s_or_saveexec_b64 s[6:7], s[6:7]
	v_mov_b32_e32 v4, s10
	s_xor_b64 exec, exec, s[6:7]
	s_cbranch_execnz .LBB4_1640
.LBB4_616:                              ;   in Loop: Header=BB4_62 Depth=1
	s_or_b64 exec, exec, s[6:7]
	s_and_saveexec_b64 s[6:7], s[4:5]
	s_cbranch_execz .LBB4_618
.LBB4_617:                              ;   in Loop: Header=BB4_62 Depth=1
	v_and_b32_e32 v4, 7, v5
	v_ffbh_u32_e32 v7, v4
	v_min_u32_e32 v7, 32, v7
	v_lshrrev_b16_sdwa v6, v60, v34 dst_sel:DWORD dst_unused:UNUSED_PAD src0_sel:DWORD src1_sel:WORD_1
	v_subrev_u32_e32 v8, 28, v7
	v_and_b32_e32 v6, 15, v6
	v_lshlrev_b32_e32 v8, v8, v4
	v_sub_u32_e32 v7, 29, v7
	v_and_b32_e32 v8, 7, v8
	v_cmp_eq_u16_e32 vcc, 0, v6
	v_lshrrev_b16_sdwa v5, v44, v34 dst_sel:DWORD dst_unused:UNUSED_PAD src0_sel:DWORD src1_sel:WORD_1
	v_cndmask_b32_e32 v4, v4, v8, vcc
	v_cndmask_b32_e32 v6, v6, v7, vcc
	v_lshlrev_b32_e32 v4, 20, v4
	v_lshlrev_b32_e32 v5, 31, v5
	v_lshl_add_u32 v6, v6, 23, v126
	v_or3_b32 v4, v5, v6, v4
.LBB4_618:                              ;   in Loop: Header=BB4_62 Depth=1
	s_or_b64 exec, exec, s[6:7]
	v_cmp_gt_i16_sdwa s[6:7], v35, s24 src0_sel:BYTE_0 src1_sel:DWORD
	s_mov_b64 s[4:5], 0
                                        ; implicit-def: $sgpr10
	s_and_saveexec_b64 s[8:9], s[6:7]
	s_xor_b64 s[6:7], exec, s[8:9]
	s_cbranch_execnz .LBB4_1641
; %bb.619:                              ;   in Loop: Header=BB4_62 Depth=1
	s_or_saveexec_b64 s[6:7], s[6:7]
	v_mov_b32_e32 v5, s10
	s_xor_b64 exec, exec, s[6:7]
	s_cbranch_execnz .LBB4_1644
.LBB4_620:                              ;   in Loop: Header=BB4_62 Depth=1
	s_or_b64 exec, exec, s[6:7]
	s_and_saveexec_b64 s[6:7], s[4:5]
	s_cbranch_execz .LBB4_622
.LBB4_621:                              ;   in Loop: Header=BB4_62 Depth=1
	v_and_b32_e32 v5, 7, v35
	v_ffbh_u32_e32 v8, v5
	v_min_u32_e32 v8, 32, v8
	v_lshrrev_b16_e32 v7, 3, v35
	v_subrev_u32_e32 v9, 28, v8
	v_and_b32_e32 v7, 15, v7
	v_lshlrev_b32_e32 v9, v9, v5
	v_sub_u32_e32 v8, 29, v8
	v_and_b32_e32 v9, 7, v9
	v_cmp_eq_u16_e32 vcc, 0, v7
	v_lshrrev_b16_e32 v6, 7, v35
	v_cndmask_b32_e32 v5, v5, v9, vcc
	v_cndmask_b32_e32 v7, v7, v8, vcc
	v_lshlrev_b32_e32 v5, 20, v5
	v_lshlrev_b32_e32 v6, 31, v6
	v_lshl_add_u32 v7, v7, 23, v126
	v_or3_b32 v5, v6, v7, v5
.LBB4_622:                              ;   in Loop: Header=BB4_62 Depth=1
	s_or_b64 exec, exec, s[6:7]
	v_cmp_gt_i16_sdwa s[6:7], v35, s24 src0_sel:BYTE_1 src1_sel:DWORD
	s_mov_b64 s[4:5], 0
                                        ; implicit-def: $sgpr10
	s_and_saveexec_b64 s[8:9], s[6:7]
	s_xor_b64 s[6:7], exec, s[8:9]
	s_cbranch_execnz .LBB4_1645
; %bb.623:                              ;   in Loop: Header=BB4_62 Depth=1
	s_or_saveexec_b64 s[6:7], s[6:7]
	v_mov_b32_e32 v6, s10
	s_xor_b64 exec, exec, s[6:7]
	s_cbranch_execnz .LBB4_1648
.LBB4_624:                              ;   in Loop: Header=BB4_62 Depth=1
	s_or_b64 exec, exec, s[6:7]
	s_and_saveexec_b64 s[6:7], s[4:5]
	s_cbranch_execz .LBB4_626
.LBB4_625:                              ;   in Loop: Header=BB4_62 Depth=1
	v_and_b32_sdwa v6, v35, v116 dst_sel:DWORD dst_unused:UNUSED_PAD src0_sel:BYTE_1 src1_sel:DWORD
	v_ffbh_u32_e32 v9, v6
	v_min_u32_e32 v9, 32, v9
	v_lshrrev_b16_e32 v8, 11, v35
	v_subrev_u32_e32 v10, 28, v9
	v_and_b32_e32 v8, 15, v8
	v_lshlrev_b32_e32 v10, v10, v6
	v_sub_u32_e32 v9, 29, v9
	v_and_b32_e32 v10, 7, v10
	v_cmp_eq_u16_e32 vcc, 0, v8
	v_lshrrev_b16_e32 v7, 15, v35
	v_cndmask_b32_e32 v6, v6, v10, vcc
	v_cndmask_b32_e32 v8, v8, v9, vcc
	v_lshlrev_b32_e32 v6, 20, v6
	v_lshlrev_b32_e32 v7, 31, v7
	v_lshl_add_u32 v8, v8, 23, v126
	v_or3_b32 v6, v7, v8, v6
.LBB4_626:                              ;   in Loop: Header=BB4_62 Depth=1
	s_or_b64 exec, exec, s[6:7]
	v_and_b32_sdwa v8, v35, s23 dst_sel:DWORD dst_unused:UNUSED_PAD src0_sel:WORD_1 src1_sel:DWORD
	v_cmp_lt_i16_e32 vcc, s24, v8
	s_mov_b64 s[4:5], 0
                                        ; implicit-def: $sgpr10
	s_and_saveexec_b64 s[6:7], vcc
	s_xor_b64 s[6:7], exec, s[6:7]
	s_cbranch_execnz .LBB4_1649
; %bb.627:                              ;   in Loop: Header=BB4_62 Depth=1
	s_or_saveexec_b64 s[6:7], s[6:7]
	v_mov_b32_e32 v7, s10
	s_xor_b64 exec, exec, s[6:7]
	s_cbranch_execnz .LBB4_1652
.LBB4_628:                              ;   in Loop: Header=BB4_62 Depth=1
	s_or_b64 exec, exec, s[6:7]
	s_and_saveexec_b64 s[6:7], s[4:5]
	s_cbranch_execz .LBB4_630
.LBB4_629:                              ;   in Loop: Header=BB4_62 Depth=1
	v_and_b32_sdwa v7, v35, v116 dst_sel:DWORD dst_unused:UNUSED_PAD src0_sel:WORD_1 src1_sel:DWORD
	v_ffbh_u32_e32 v10, v7
	v_min_u32_e32 v10, 32, v10
	v_lshrrev_b16_sdwa v9, v117, v35 dst_sel:DWORD dst_unused:UNUSED_PAD src0_sel:DWORD src1_sel:WORD_1
	v_subrev_u32_e32 v11, 28, v10
	v_and_b32_e32 v9, 15, v9
	v_lshlrev_b32_e32 v11, v11, v7
	v_sub_u32_e32 v10, 29, v10
	v_and_b32_e32 v11, 7, v11
	v_cmp_eq_u16_e32 vcc, 0, v9
	v_lshrrev_b16_sdwa v8, v116, v35 dst_sel:DWORD dst_unused:UNUSED_PAD src0_sel:DWORD src1_sel:WORD_1
	v_cndmask_b32_e32 v7, v7, v11, vcc
	v_cndmask_b32_e32 v9, v9, v10, vcc
	v_lshlrev_b32_e32 v7, 20, v7
	v_lshlrev_b32_e32 v8, 31, v8
	v_lshl_add_u32 v9, v9, 23, v126
	v_or3_b32 v7, v8, v9, v7
.LBB4_630:                              ;   in Loop: Header=BB4_62 Depth=1
	s_or_b64 exec, exec, s[6:7]
	v_lshrrev_b16_sdwa v34, v124, v35 dst_sel:DWORD dst_unused:UNUSED_PAD src0_sel:DWORD src1_sel:WORD_1
	v_cmp_lt_i16_e32 vcc, s24, v34
	s_mov_b64 s[4:5], 0
                                        ; implicit-def: $sgpr10
	s_and_saveexec_b64 s[6:7], vcc
	s_xor_b64 s[6:7], exec, s[6:7]
	s_cbranch_execnz .LBB4_1653
; %bb.631:                              ;   in Loop: Header=BB4_62 Depth=1
	s_or_saveexec_b64 s[6:7], s[6:7]
	v_mov_b32_e32 v49, s10
	s_xor_b64 exec, exec, s[6:7]
	s_cbranch_execnz .LBB4_1656
.LBB4_632:                              ;   in Loop: Header=BB4_62 Depth=1
	s_or_b64 exec, exec, s[6:7]
	s_and_saveexec_b64 s[6:7], s[4:5]
	s_cbranch_execz .LBB4_634
.LBB4_633:                              ;   in Loop: Header=BB4_62 Depth=1
	v_and_b32_e32 v8, 7, v34
	v_ffbh_u32_e32 v11, v8
	v_min_u32_e32 v11, 32, v11
	v_lshrrev_b16_sdwa v10, v60, v35 dst_sel:DWORD dst_unused:UNUSED_PAD src0_sel:DWORD src1_sel:WORD_1
	v_subrev_u32_e32 v34, 28, v11
	v_and_b32_e32 v10, 15, v10
	v_lshlrev_b32_e32 v34, v34, v8
	v_sub_u32_e32 v11, 29, v11
	v_and_b32_e32 v34, 7, v34
	v_cmp_eq_u16_e32 vcc, 0, v10
	v_lshrrev_b16_sdwa v9, v44, v35 dst_sel:DWORD dst_unused:UNUSED_PAD src0_sel:DWORD src1_sel:WORD_1
	v_cndmask_b32_e32 v8, v8, v34, vcc
	v_cndmask_b32_e32 v10, v10, v11, vcc
	v_lshlrev_b32_e32 v8, 20, v8
	v_lshlrev_b32_e32 v9, 31, v9
	v_lshl_add_u32 v10, v10, 23, v126
	v_or3_b32 v49, v9, v10, v8
.LBB4_634:                              ;   in Loop: Header=BB4_62 Depth=1
	s_or_b64 exec, exec, s[6:7]
	v_cvt_pkrtz_f16_f32 v0, v0, v1
	v_cvt_pkrtz_f16_f32 v1, v2, v3
	;; [unrolled: 1-line block ×8, first 2 shown]
	buffer_store_dword v1, off, s[0:3], s33 offset:228
	buffer_store_dword v0, off, s[0:3], s33 offset:224
	;; [unrolled: 1-line block ×8, first 2 shown]
	flat_load_dwordx2 v[48:49], v[102:103] offset:224
	flat_load_dwordx2 v[50:51], v[102:103] offset:240
	flat_load_dwordx4 v[32:35], v[102:103] offset:252
	flat_load_dwordx3 v[36:38], v[102:103] offset:208
	flat_load_dwordx2 v[96:97], v[78:79]
	flat_load_dwordx2 v[72:73], v[112:113]
	s_mov_b64 s[4:5], 0
                                        ; implicit-def: $sgpr10
	s_waitcnt vmcnt(0) lgkmcnt(0)
	v_sub_u32_e32 v0, v48, v51
	v_add_u32_e32 v3, v50, v32
	v_add_u32_e32 v5, 16, v35
	;; [unrolled: 1-line block ×4, first 2 shown]
	v_add3_u32 v0, v0, v33, 16
	v_add_u32_e32 v2, 8, v35
	v_sub_u32_e32 v9, v49, v3
	v_ashrrev_i32_e32 v3, 31, v5
	v_ashrrev_i32_e32 v10, 31, v6
	;; [unrolled: 1-line block ×5, first 2 shown]
	v_sub_u32_e32 v33, v0, v38
	v_lshrrev_b32_e32 v3, 29, v3
	v_lshrrev_b32_e32 v10, 29, v10
	;; [unrolled: 1-line block ×4, first 2 shown]
	v_sub_u32_e32 v4, v36, v34
	v_lshrrev_b32_e32 v8, 29, v8
	v_lshlrev_b32_e32 v33, 8, v33
	v_add_u32_e32 v3, v5, v3
	v_add_u32_e32 v10, v6, v10
	;; [unrolled: 1-line block ×6, first 2 shown]
	v_lshrrev_b32_e32 v4, 3, v3
	v_and_b32_e32 v3, -8, v3
	v_lshrrev_b32_e32 v39, 3, v10
	v_and_b32_e32 v10, -8, v10
	;; [unrolled: 2-line block ×3, first 2 shown]
	v_and_b32_e32 v32, 0xffffffe0, v32
	v_sub_u32_e32 v1, v49, v50
	v_lshrrev_b32_e32 v34, 3, v8
	v_and_b32_e32 v8, -8, v8
	v_sub_u32_e32 v3, v5, v3
	v_sub_u32_e32 v5, v6, v10
	v_sub_u32_e32 v10, v7, v11
	v_sub_u32_e32 v11, v0, v32
	v_sub_u32_e32 v2, v2, v8
	v_add_u32_e32 v8, v34, v9
	v_xor_b32_e32 v0, v11, v1
	v_xor_b32_e32 v1, v8, v11
	v_sub_u32_e32 v0, v0, v37
	v_add_u32_e32 v4, v4, v9
	v_sub_u32_e32 v1, v1, v37
	v_lshlrev_b32_e32 v0, 3, v0
	v_xor_b32_e32 v4, v4, v11
	v_lshlrev_b32_e32 v1, 3, v1
	v_add3_u32 v0, v33, v36, v0
	v_add_u32_e32 v6, v39, v9
	v_sub_u32_e32 v4, v4, v37
	v_add3_u32 v2, v2, v38, v1
	v_ashrrev_i32_e32 v1, 31, v0
	v_xor_b32_e32 v6, v6, v11
	v_lshlrev_b32_e32 v4, 3, v4
	v_lshlrev_b64 v[0:1], 1, v[0:1]
	v_sub_u32_e32 v6, v6, v37
	v_add3_u32 v4, v3, v38, v4
	v_ashrrev_i32_e32 v3, 31, v2
	v_add_co_u32_e32 v0, vcc, v96, v0
	v_lshlrev_b32_e32 v6, 3, v6
	v_lshlrev_b64 v[2:3], 1, v[2:3]
	v_addc_co_u32_e32 v1, vcc, v97, v1, vcc
	v_add3_u32 v6, v5, v38, v6
	v_ashrrev_i32_e32 v5, 31, v4
	v_add_co_u32_e32 v2, vcc, v96, v2
	v_lshlrev_b64 v[4:5], 1, v[4:5]
	v_addc_co_u32_e32 v3, vcc, v97, v3, vcc
	v_ashrrev_i32_e32 v7, 31, v6
	v_add_co_u32_e32 v4, vcc, v96, v4
	v_lshlrev_b64 v[6:7], 1, v[6:7]
	v_addc_co_u32_e32 v5, vcc, v97, v5, vcc
	v_add_co_u32_e32 v6, vcc, v96, v6
	v_addc_co_u32_e32 v7, vcc, v97, v7, vcc
	flat_load_dwordx4 v[84:87], v[0:1]
	flat_load_dwordx4 v[80:83], v[2:3]
	;; [unrolled: 1-line block ×4, first 2 shown]
	v_add_u32_e32 v2, 40, v35
	v_ashrrev_i32_e32 v3, 31, v2
	v_lshrrev_b32_e32 v3, 29, v3
	v_add_u32_e32 v0, v48, v9
	v_add_u32_e32 v3, v2, v3
	v_xor_b32_e32 v0, v0, v11
	v_lshrrev_b32_e32 v4, 3, v3
	v_and_b32_e32 v3, -8, v3
	v_sub_u32_e32 v0, v0, v37
	v_sub_u32_e32 v2, v2, v3
	v_add_u32_e32 v3, v4, v9
	v_lshlrev_b32_e32 v0, 3, v0
	v_xor_b32_e32 v3, v3, v11
	v_add3_u32 v0, v10, v38, v0
	v_sub_u32_e32 v3, v3, v37
	v_ashrrev_i32_e32 v1, 31, v0
	v_lshlrev_b32_e32 v3, 3, v3
	v_lshlrev_b64 v[0:1], 1, v[0:1]
	v_add3_u32 v2, v2, v38, v3
	v_add_co_u32_e32 v0, vcc, v96, v0
	v_ashrrev_i32_e32 v3, 31, v2
	v_addc_co_u32_e32 v1, vcc, v97, v1, vcc
	v_lshlrev_b64 v[2:3], 1, v[2:3]
	v_add_co_u32_e32 v2, vcc, v96, v2
	v_addc_co_u32_e32 v3, vcc, v97, v3, vcc
	flat_load_dwordx4 v[52:55], v[0:1]
	flat_load_dwordx4 v[48:51], v[2:3]
	v_add_u32_e32 v0, 48, v35
	v_ashrrev_i32_e32 v1, 31, v0
	v_lshrrev_b32_e32 v1, 29, v1
	v_add_u32_e32 v1, v0, v1
	v_lshrrev_b32_e32 v2, 3, v1
	v_and_b32_e32 v1, -8, v1
	v_sub_u32_e32 v0, v0, v1
	v_add_u32_e32 v1, v2, v9
	v_add_u32_e32 v2, 56, v35
	v_ashrrev_i32_e32 v3, 31, v2
	v_lshrrev_b32_e32 v3, 29, v3
	v_add_u32_e32 v3, v2, v3
	v_xor_b32_e32 v1, v1, v11
	v_lshrrev_b32_e32 v4, 3, v3
	v_and_b32_e32 v3, -8, v3
	v_sub_u32_e32 v1, v1, v37
	v_sub_u32_e32 v2, v2, v3
	v_add_u32_e32 v3, v4, v9
	v_lshlrev_b32_e32 v1, 3, v1
	v_xor_b32_e32 v3, v3, v11
	v_add3_u32 v0, v0, v38, v1
	v_sub_u32_e32 v3, v3, v37
	v_ashrrev_i32_e32 v1, 31, v0
	v_lshlrev_b32_e32 v3, 3, v3
	v_lshlrev_b64 v[0:1], 1, v[0:1]
	v_add3_u32 v2, v2, v38, v3
	v_add_co_u32_e32 v0, vcc, v96, v0
	v_ashrrev_i32_e32 v3, 31, v2
	v_addc_co_u32_e32 v1, vcc, v97, v1, vcc
	v_lshlrev_b64 v[2:3], 1, v[2:3]
	v_add_co_u32_e32 v2, vcc, v96, v2
	v_addc_co_u32_e32 v3, vcc, v97, v3, vcc
	v_ashrrev_i32_e32 v5, 31, v61
	v_add_co_u32_e32 v4, vcc, v72, v61
	v_addc_co_u32_e32 v5, vcc, v73, v5, vcc
	flat_load_dwordx4 v[96:99], v[4:5]
	flat_load_dwordx4 v[36:39], v[0:1]
	;; [unrolled: 1-line block ×3, first 2 shown]
	s_waitcnt vmcnt(0) lgkmcnt(0)
	v_cmp_gt_i16_sdwa s[6:7], v96, s24 src0_sel:BYTE_0 src1_sel:DWORD
	s_and_saveexec_b64 s[8:9], s[6:7]
	s_xor_b64 s[6:7], exec, s[8:9]
	s_cbranch_execnz .LBB4_1657
; %bb.635:                              ;   in Loop: Header=BB4_62 Depth=1
	s_or_saveexec_b64 s[6:7], s[6:7]
	v_mov_b32_e32 v0, s10
	s_xor_b64 exec, exec, s[6:7]
	s_cbranch_execnz .LBB4_1660
.LBB4_636:                              ;   in Loop: Header=BB4_62 Depth=1
	s_or_b64 exec, exec, s[6:7]
	s_and_saveexec_b64 s[6:7], s[4:5]
	s_cbranch_execz .LBB4_638
.LBB4_637:                              ;   in Loop: Header=BB4_62 Depth=1
	v_and_b32_e32 v0, 7, v96
	v_ffbh_u32_e32 v3, v0
	v_min_u32_e32 v3, 32, v3
	v_lshrrev_b16_e32 v2, 3, v96
	v_subrev_u32_e32 v4, 28, v3
	v_and_b32_e32 v2, 15, v2
	v_lshlrev_b32_e32 v4, v4, v0
	v_sub_u32_e32 v3, 29, v3
	v_and_b32_e32 v4, 7, v4
	v_cmp_eq_u16_e32 vcc, 0, v2
	v_lshrrev_b16_e32 v1, 7, v96
	v_cndmask_b32_e32 v0, v0, v4, vcc
	v_cndmask_b32_e32 v2, v2, v3, vcc
	v_lshlrev_b32_e32 v0, 20, v0
	v_lshlrev_b32_e32 v1, 31, v1
	v_lshl_add_u32 v2, v2, 23, v126
	v_or3_b32 v0, v1, v2, v0
.LBB4_638:                              ;   in Loop: Header=BB4_62 Depth=1
	s_or_b64 exec, exec, s[6:7]
	v_cmp_gt_i16_sdwa s[6:7], v96, s24 src0_sel:BYTE_1 src1_sel:DWORD
	s_mov_b64 s[4:5], 0
                                        ; implicit-def: $sgpr10
	s_and_saveexec_b64 s[8:9], s[6:7]
	s_xor_b64 s[6:7], exec, s[8:9]
	s_cbranch_execnz .LBB4_1661
; %bb.639:                              ;   in Loop: Header=BB4_62 Depth=1
	s_or_saveexec_b64 s[6:7], s[6:7]
	v_mov_b32_e32 v1, s10
	s_xor_b64 exec, exec, s[6:7]
	s_cbranch_execnz .LBB4_1664
.LBB4_640:                              ;   in Loop: Header=BB4_62 Depth=1
	s_or_b64 exec, exec, s[6:7]
	s_and_saveexec_b64 s[6:7], s[4:5]
	s_cbranch_execz .LBB4_642
.LBB4_641:                              ;   in Loop: Header=BB4_62 Depth=1
	v_and_b32_sdwa v1, v96, v116 dst_sel:DWORD dst_unused:UNUSED_PAD src0_sel:BYTE_1 src1_sel:DWORD
	v_ffbh_u32_e32 v4, v1
	v_min_u32_e32 v4, 32, v4
	v_lshrrev_b16_e32 v3, 11, v96
	v_subrev_u32_e32 v5, 28, v4
	v_and_b32_e32 v3, 15, v3
	v_lshlrev_b32_e32 v5, v5, v1
	v_sub_u32_e32 v4, 29, v4
	v_and_b32_e32 v5, 7, v5
	v_cmp_eq_u16_e32 vcc, 0, v3
	v_lshrrev_b16_e32 v2, 15, v96
	v_cndmask_b32_e32 v1, v1, v5, vcc
	v_cndmask_b32_e32 v3, v3, v4, vcc
	v_lshlrev_b32_e32 v1, 20, v1
	v_lshlrev_b32_e32 v2, 31, v2
	v_lshl_add_u32 v3, v3, 23, v126
	v_or3_b32 v1, v2, v3, v1
.LBB4_642:                              ;   in Loop: Header=BB4_62 Depth=1
	s_or_b64 exec, exec, s[6:7]
	v_and_b32_sdwa v3, v96, s23 dst_sel:DWORD dst_unused:UNUSED_PAD src0_sel:WORD_1 src1_sel:DWORD
	v_cmp_lt_i16_e32 vcc, s24, v3
	s_mov_b64 s[4:5], 0
                                        ; implicit-def: $sgpr10
	s_and_saveexec_b64 s[6:7], vcc
	s_xor_b64 s[6:7], exec, s[6:7]
	s_cbranch_execnz .LBB4_1665
; %bb.643:                              ;   in Loop: Header=BB4_62 Depth=1
	s_or_saveexec_b64 s[6:7], s[6:7]
	v_mov_b32_e32 v2, s10
	s_xor_b64 exec, exec, s[6:7]
	s_cbranch_execnz .LBB4_1668
.LBB4_644:                              ;   in Loop: Header=BB4_62 Depth=1
	s_or_b64 exec, exec, s[6:7]
	s_and_saveexec_b64 s[6:7], s[4:5]
	s_cbranch_execz .LBB4_646
.LBB4_645:                              ;   in Loop: Header=BB4_62 Depth=1
	v_and_b32_sdwa v2, v96, v116 dst_sel:DWORD dst_unused:UNUSED_PAD src0_sel:WORD_1 src1_sel:DWORD
	v_ffbh_u32_e32 v5, v2
	v_min_u32_e32 v5, 32, v5
	v_lshrrev_b16_sdwa v4, v117, v96 dst_sel:DWORD dst_unused:UNUSED_PAD src0_sel:DWORD src1_sel:WORD_1
	v_subrev_u32_e32 v6, 28, v5
	v_and_b32_e32 v4, 15, v4
	v_lshlrev_b32_e32 v6, v6, v2
	v_sub_u32_e32 v5, 29, v5
	v_and_b32_e32 v6, 7, v6
	v_cmp_eq_u16_e32 vcc, 0, v4
	v_lshrrev_b16_sdwa v3, v116, v96 dst_sel:DWORD dst_unused:UNUSED_PAD src0_sel:DWORD src1_sel:WORD_1
	v_cndmask_b32_e32 v2, v2, v6, vcc
	v_cndmask_b32_e32 v4, v4, v5, vcc
	v_lshlrev_b32_e32 v2, 20, v2
	v_lshlrev_b32_e32 v3, 31, v3
	v_lshl_add_u32 v4, v4, 23, v126
	v_or3_b32 v2, v3, v4, v2
.LBB4_646:                              ;   in Loop: Header=BB4_62 Depth=1
	s_or_b64 exec, exec, s[6:7]
	v_lshrrev_b16_sdwa v4, v124, v96 dst_sel:DWORD dst_unused:UNUSED_PAD src0_sel:DWORD src1_sel:WORD_1
	v_cmp_lt_i16_e32 vcc, s24, v4
	s_mov_b64 s[4:5], 0
                                        ; implicit-def: $sgpr10
	s_and_saveexec_b64 s[6:7], vcc
	s_xor_b64 s[6:7], exec, s[6:7]
	s_cbranch_execnz .LBB4_1669
; %bb.647:                              ;   in Loop: Header=BB4_62 Depth=1
	s_or_saveexec_b64 s[6:7], s[6:7]
	v_mov_b32_e32 v3, s10
	s_xor_b64 exec, exec, s[6:7]
	s_cbranch_execnz .LBB4_1672
.LBB4_648:                              ;   in Loop: Header=BB4_62 Depth=1
	s_or_b64 exec, exec, s[6:7]
	s_and_saveexec_b64 s[6:7], s[4:5]
	s_cbranch_execz .LBB4_650
.LBB4_649:                              ;   in Loop: Header=BB4_62 Depth=1
	v_and_b32_e32 v3, 7, v4
	v_ffbh_u32_e32 v6, v3
	v_min_u32_e32 v6, 32, v6
	v_lshrrev_b16_sdwa v5, v60, v96 dst_sel:DWORD dst_unused:UNUSED_PAD src0_sel:DWORD src1_sel:WORD_1
	v_subrev_u32_e32 v7, 28, v6
	v_and_b32_e32 v5, 15, v5
	v_lshlrev_b32_e32 v7, v7, v3
	v_sub_u32_e32 v6, 29, v6
	v_and_b32_e32 v7, 7, v7
	v_cmp_eq_u16_e32 vcc, 0, v5
	v_lshrrev_b16_sdwa v4, v44, v96 dst_sel:DWORD dst_unused:UNUSED_PAD src0_sel:DWORD src1_sel:WORD_1
	v_cndmask_b32_e32 v3, v3, v7, vcc
	v_cndmask_b32_e32 v5, v5, v6, vcc
	v_lshlrev_b32_e32 v3, 20, v3
	v_lshlrev_b32_e32 v4, 31, v4
	v_lshl_add_u32 v5, v5, 23, v126
	v_or3_b32 v3, v4, v5, v3
.LBB4_650:                              ;   in Loop: Header=BB4_62 Depth=1
	s_or_b64 exec, exec, s[6:7]
	v_cmp_gt_i16_sdwa s[6:7], v97, s24 src0_sel:BYTE_0 src1_sel:DWORD
	s_mov_b64 s[4:5], 0
                                        ; implicit-def: $sgpr10
	s_and_saveexec_b64 s[8:9], s[6:7]
	s_xor_b64 s[6:7], exec, s[8:9]
	s_cbranch_execnz .LBB4_1673
; %bb.651:                              ;   in Loop: Header=BB4_62 Depth=1
	s_or_saveexec_b64 s[6:7], s[6:7]
	v_mov_b32_e32 v96, s10
	s_xor_b64 exec, exec, s[6:7]
	s_cbranch_execnz .LBB4_1676
.LBB4_652:                              ;   in Loop: Header=BB4_62 Depth=1
	s_or_b64 exec, exec, s[6:7]
	s_and_saveexec_b64 s[6:7], s[4:5]
	s_cbranch_execz .LBB4_654
.LBB4_653:                              ;   in Loop: Header=BB4_62 Depth=1
	v_and_b32_e32 v4, 7, v97
	v_ffbh_u32_e32 v7, v4
	v_min_u32_e32 v7, 32, v7
	v_lshrrev_b16_e32 v6, 3, v97
	v_subrev_u32_e32 v8, 28, v7
	v_and_b32_e32 v6, 15, v6
	v_lshlrev_b32_e32 v8, v8, v4
	v_sub_u32_e32 v7, 29, v7
	v_and_b32_e32 v8, 7, v8
	v_cmp_eq_u16_e32 vcc, 0, v6
	v_lshrrev_b16_e32 v5, 7, v97
	v_cndmask_b32_e32 v4, v4, v8, vcc
	v_cndmask_b32_e32 v6, v6, v7, vcc
	v_lshlrev_b32_e32 v4, 20, v4
	v_lshlrev_b32_e32 v5, 31, v5
	v_lshl_add_u32 v6, v6, 23, v126
	v_or3_b32 v96, v5, v6, v4
.LBB4_654:                              ;   in Loop: Header=BB4_62 Depth=1
	s_or_b64 exec, exec, s[6:7]
	v_cmp_gt_i16_sdwa s[6:7], v97, s24 src0_sel:BYTE_1 src1_sel:DWORD
	s_mov_b64 s[4:5], 0
                                        ; implicit-def: $sgpr10
	s_and_saveexec_b64 s[8:9], s[6:7]
	s_xor_b64 s[6:7], exec, s[8:9]
	s_cbranch_execnz .LBB4_1677
; %bb.655:                              ;   in Loop: Header=BB4_62 Depth=1
	s_or_saveexec_b64 s[6:7], s[6:7]
	v_mov_b32_e32 v114, s10
	s_xor_b64 exec, exec, s[6:7]
	s_cbranch_execnz .LBB4_1680
.LBB4_656:                              ;   in Loop: Header=BB4_62 Depth=1
	s_or_b64 exec, exec, s[6:7]
	s_and_saveexec_b64 s[6:7], s[4:5]
	s_cbranch_execz .LBB4_658
.LBB4_657:                              ;   in Loop: Header=BB4_62 Depth=1
	v_and_b32_sdwa v4, v97, v116 dst_sel:DWORD dst_unused:UNUSED_PAD src0_sel:BYTE_1 src1_sel:DWORD
	v_ffbh_u32_e32 v7, v4
	v_min_u32_e32 v7, 32, v7
	v_lshrrev_b16_e32 v6, 11, v97
	v_subrev_u32_e32 v8, 28, v7
	v_and_b32_e32 v6, 15, v6
	v_lshlrev_b32_e32 v8, v8, v4
	v_sub_u32_e32 v7, 29, v7
	v_and_b32_e32 v8, 7, v8
	v_cmp_eq_u16_e32 vcc, 0, v6
	v_lshrrev_b16_e32 v5, 15, v97
	v_cndmask_b32_e32 v4, v4, v8, vcc
	v_cndmask_b32_e32 v6, v6, v7, vcc
	v_lshlrev_b32_e32 v4, 20, v4
	v_lshlrev_b32_e32 v5, 31, v5
	v_lshl_add_u32 v6, v6, 23, v126
	v_or3_b32 v114, v5, v6, v4
.LBB4_658:                              ;   in Loop: Header=BB4_62 Depth=1
	s_or_b64 exec, exec, s[6:7]
	v_and_b32_sdwa v4, v97, s23 dst_sel:DWORD dst_unused:UNUSED_PAD src0_sel:WORD_1 src1_sel:DWORD
	v_cmp_lt_i16_e32 vcc, s24, v4
	s_mov_b64 s[4:5], 0
                                        ; implicit-def: $sgpr10
	s_and_saveexec_b64 s[6:7], vcc
	s_xor_b64 s[6:7], exec, s[6:7]
	s_cbranch_execnz .LBB4_1681
; %bb.659:                              ;   in Loop: Header=BB4_62 Depth=1
	s_or_saveexec_b64 s[6:7], s[6:7]
	v_mov_b32_e32 v115, s10
	s_xor_b64 exec, exec, s[6:7]
	s_cbranch_execnz .LBB4_1684
.LBB4_660:                              ;   in Loop: Header=BB4_62 Depth=1
	s_or_b64 exec, exec, s[6:7]
	s_and_saveexec_b64 s[6:7], s[4:5]
	s_cbranch_execz .LBB4_662
.LBB4_661:                              ;   in Loop: Header=BB4_62 Depth=1
	v_and_b32_sdwa v4, v97, v116 dst_sel:DWORD dst_unused:UNUSED_PAD src0_sel:WORD_1 src1_sel:DWORD
	v_ffbh_u32_e32 v7, v4
	v_min_u32_e32 v7, 32, v7
	v_lshrrev_b16_sdwa v6, v117, v97 dst_sel:DWORD dst_unused:UNUSED_PAD src0_sel:DWORD src1_sel:WORD_1
	v_subrev_u32_e32 v8, 28, v7
	v_and_b32_e32 v6, 15, v6
	v_lshlrev_b32_e32 v8, v8, v4
	v_sub_u32_e32 v7, 29, v7
	v_and_b32_e32 v8, 7, v8
	v_cmp_eq_u16_e32 vcc, 0, v6
	v_lshrrev_b16_sdwa v5, v116, v97 dst_sel:DWORD dst_unused:UNUSED_PAD src0_sel:DWORD src1_sel:WORD_1
	v_cndmask_b32_e32 v4, v4, v8, vcc
	v_cndmask_b32_e32 v6, v6, v7, vcc
	v_lshlrev_b32_e32 v4, 20, v4
	v_lshlrev_b32_e32 v5, 31, v5
	v_lshl_add_u32 v6, v6, 23, v126
	v_or3_b32 v115, v5, v6, v4
.LBB4_662:                              ;   in Loop: Header=BB4_62 Depth=1
	s_or_b64 exec, exec, s[6:7]
	v_lshrrev_b16_sdwa v4, v124, v97 dst_sel:DWORD dst_unused:UNUSED_PAD src0_sel:DWORD src1_sel:WORD_1
	v_cmp_lt_i16_e32 vcc, s24, v4
	s_mov_b64 s[4:5], 0
                                        ; implicit-def: $sgpr10
	s_and_saveexec_b64 s[6:7], vcc
	s_xor_b64 s[6:7], exec, s[6:7]
	s_cbranch_execnz .LBB4_1685
; %bb.663:                              ;   in Loop: Header=BB4_62 Depth=1
	s_or_saveexec_b64 s[6:7], s[6:7]
	v_mov_b32_e32 v63, s10
	s_xor_b64 exec, exec, s[6:7]
	s_cbranch_execnz .LBB4_1688
.LBB4_664:                              ;   in Loop: Header=BB4_62 Depth=1
	s_or_b64 exec, exec, s[6:7]
	s_and_saveexec_b64 s[6:7], s[4:5]
	s_cbranch_execz .LBB4_666
.LBB4_665:                              ;   in Loop: Header=BB4_62 Depth=1
	v_and_b32_e32 v4, 7, v4
	v_ffbh_u32_e32 v7, v4
	v_min_u32_e32 v7, 32, v7
	v_lshrrev_b16_sdwa v6, v60, v97 dst_sel:DWORD dst_unused:UNUSED_PAD src0_sel:DWORD src1_sel:WORD_1
	v_subrev_u32_e32 v8, 28, v7
	v_and_b32_e32 v6, 15, v6
	v_lshlrev_b32_e32 v8, v8, v4
	v_sub_u32_e32 v7, 29, v7
	v_and_b32_e32 v8, 7, v8
	v_cmp_eq_u16_e32 vcc, 0, v6
	v_lshrrev_b16_sdwa v5, v44, v97 dst_sel:DWORD dst_unused:UNUSED_PAD src0_sel:DWORD src1_sel:WORD_1
	v_cndmask_b32_e32 v4, v4, v8, vcc
	v_cndmask_b32_e32 v6, v6, v7, vcc
	v_lshlrev_b32_e32 v4, 20, v4
	v_lshlrev_b32_e32 v5, 31, v5
	v_lshl_add_u32 v6, v6, 23, v126
	v_or3_b32 v63, v5, v6, v4
.LBB4_666:                              ;   in Loop: Header=BB4_62 Depth=1
	s_or_b64 exec, exec, s[6:7]
	v_cmp_gt_i16_sdwa s[6:7], v98, s24 src0_sel:BYTE_0 src1_sel:DWORD
	s_mov_b64 s[4:5], 0
                                        ; implicit-def: $sgpr10
	s_and_saveexec_b64 s[8:9], s[6:7]
	s_xor_b64 s[6:7], exec, s[8:9]
	s_cbranch_execnz .LBB4_1689
; %bb.667:                              ;   in Loop: Header=BB4_62 Depth=1
	s_or_saveexec_b64 s[6:7], s[6:7]
	v_mov_b32_e32 v97, s10
	s_xor_b64 exec, exec, s[6:7]
	s_cbranch_execnz .LBB4_1692
.LBB4_668:                              ;   in Loop: Header=BB4_62 Depth=1
	s_or_b64 exec, exec, s[6:7]
	s_and_saveexec_b64 s[6:7], s[4:5]
	s_cbranch_execz .LBB4_670
.LBB4_669:                              ;   in Loop: Header=BB4_62 Depth=1
	v_and_b32_e32 v4, 7, v98
	v_ffbh_u32_e32 v7, v4
	v_min_u32_e32 v7, 32, v7
	v_lshrrev_b16_e32 v6, 3, v98
	v_subrev_u32_e32 v8, 28, v7
	v_and_b32_e32 v6, 15, v6
	v_lshlrev_b32_e32 v8, v8, v4
	v_sub_u32_e32 v7, 29, v7
	v_and_b32_e32 v8, 7, v8
	v_cmp_eq_u16_e32 vcc, 0, v6
	v_lshrrev_b16_e32 v5, 7, v98
	v_cndmask_b32_e32 v4, v4, v8, vcc
	v_cndmask_b32_e32 v6, v6, v7, vcc
	v_lshlrev_b32_e32 v4, 20, v4
	v_lshlrev_b32_e32 v5, 31, v5
	v_lshl_add_u32 v6, v6, 23, v126
	v_or3_b32 v97, v5, v6, v4
.LBB4_670:                              ;   in Loop: Header=BB4_62 Depth=1
	s_or_b64 exec, exec, s[6:7]
	v_cmp_gt_i16_sdwa s[6:7], v98, s24 src0_sel:BYTE_1 src1_sel:DWORD
	s_mov_b64 s[4:5], 0
                                        ; implicit-def: $sgpr10
	s_and_saveexec_b64 s[8:9], s[6:7]
	s_xor_b64 s[6:7], exec, s[8:9]
	s_cbranch_execnz .LBB4_1693
; %bb.671:                              ;   in Loop: Header=BB4_62 Depth=1
	s_or_saveexec_b64 s[6:7], s[6:7]
	v_mov_b32_e32 v74, s10
	s_xor_b64 exec, exec, s[6:7]
	s_cbranch_execnz .LBB4_1696
.LBB4_672:                              ;   in Loop: Header=BB4_62 Depth=1
	s_or_b64 exec, exec, s[6:7]
	s_and_saveexec_b64 s[6:7], s[4:5]
	s_cbranch_execz .LBB4_674
.LBB4_673:                              ;   in Loop: Header=BB4_62 Depth=1
	v_and_b32_sdwa v4, v98, v116 dst_sel:DWORD dst_unused:UNUSED_PAD src0_sel:BYTE_1 src1_sel:DWORD
	v_ffbh_u32_e32 v7, v4
	v_min_u32_e32 v7, 32, v7
	v_lshrrev_b16_e32 v6, 11, v98
	v_subrev_u32_e32 v8, 28, v7
	v_and_b32_e32 v6, 15, v6
	v_lshlrev_b32_e32 v8, v8, v4
	v_sub_u32_e32 v7, 29, v7
	v_and_b32_e32 v8, 7, v8
	v_cmp_eq_u16_e32 vcc, 0, v6
	v_lshrrev_b16_e32 v5, 15, v98
	v_cndmask_b32_e32 v4, v4, v8, vcc
	v_cndmask_b32_e32 v6, v6, v7, vcc
	v_lshlrev_b32_e32 v4, 20, v4
	v_lshlrev_b32_e32 v5, 31, v5
	v_lshl_add_u32 v6, v6, 23, v126
	v_or3_b32 v74, v5, v6, v4
.LBB4_674:                              ;   in Loop: Header=BB4_62 Depth=1
	s_or_b64 exec, exec, s[6:7]
	v_and_b32_sdwa v4, v98, s23 dst_sel:DWORD dst_unused:UNUSED_PAD src0_sel:WORD_1 src1_sel:DWORD
	v_cmp_lt_i16_e32 vcc, s24, v4
	s_mov_b64 s[4:5], 0
                                        ; implicit-def: $sgpr10
	s_and_saveexec_b64 s[6:7], vcc
	s_xor_b64 s[6:7], exec, s[6:7]
	s_cbranch_execnz .LBB4_1697
; %bb.675:                              ;   in Loop: Header=BB4_62 Depth=1
	s_or_saveexec_b64 s[6:7], s[6:7]
	v_mov_b32_e32 v75, s10
	s_xor_b64 exec, exec, s[6:7]
	s_cbranch_execnz .LBB4_1700
.LBB4_676:                              ;   in Loop: Header=BB4_62 Depth=1
	s_or_b64 exec, exec, s[6:7]
	s_and_saveexec_b64 s[6:7], s[4:5]
	s_cbranch_execz .LBB4_678
.LBB4_677:                              ;   in Loop: Header=BB4_62 Depth=1
	v_and_b32_sdwa v4, v98, v116 dst_sel:DWORD dst_unused:UNUSED_PAD src0_sel:WORD_1 src1_sel:DWORD
	v_ffbh_u32_e32 v7, v4
	v_min_u32_e32 v7, 32, v7
	v_lshrrev_b16_sdwa v6, v117, v98 dst_sel:DWORD dst_unused:UNUSED_PAD src0_sel:DWORD src1_sel:WORD_1
	v_subrev_u32_e32 v8, 28, v7
	v_and_b32_e32 v6, 15, v6
	v_lshlrev_b32_e32 v8, v8, v4
	v_sub_u32_e32 v7, 29, v7
	v_and_b32_e32 v8, 7, v8
	v_cmp_eq_u16_e32 vcc, 0, v6
	v_lshrrev_b16_sdwa v5, v116, v98 dst_sel:DWORD dst_unused:UNUSED_PAD src0_sel:DWORD src1_sel:WORD_1
	v_cndmask_b32_e32 v4, v4, v8, vcc
	v_cndmask_b32_e32 v6, v6, v7, vcc
	v_lshlrev_b32_e32 v4, 20, v4
	v_lshlrev_b32_e32 v5, 31, v5
	v_lshl_add_u32 v6, v6, 23, v126
	v_or3_b32 v75, v5, v6, v4
.LBB4_678:                              ;   in Loop: Header=BB4_62 Depth=1
	s_or_b64 exec, exec, s[6:7]
	v_lshrrev_b16_sdwa v5, v124, v98 dst_sel:DWORD dst_unused:UNUSED_PAD src0_sel:DWORD src1_sel:WORD_1
	v_cmp_lt_i16_e32 vcc, s24, v5
	s_mov_b64 s[4:5], 0
                                        ; implicit-def: $sgpr10
	s_and_saveexec_b64 s[6:7], vcc
	s_xor_b64 s[6:7], exec, s[6:7]
	s_cbranch_execnz .LBB4_1701
; %bb.679:                              ;   in Loop: Header=BB4_62 Depth=1
	s_or_saveexec_b64 s[6:7], s[6:7]
	v_mov_b32_e32 v4, s10
	s_xor_b64 exec, exec, s[6:7]
	s_cbranch_execnz .LBB4_1704
.LBB4_680:                              ;   in Loop: Header=BB4_62 Depth=1
	s_or_b64 exec, exec, s[6:7]
	s_and_saveexec_b64 s[6:7], s[4:5]
	s_cbranch_execz .LBB4_682
.LBB4_681:                              ;   in Loop: Header=BB4_62 Depth=1
	v_and_b32_e32 v4, 7, v5
	v_ffbh_u32_e32 v7, v4
	v_min_u32_e32 v7, 32, v7
	v_lshrrev_b16_sdwa v6, v60, v98 dst_sel:DWORD dst_unused:UNUSED_PAD src0_sel:DWORD src1_sel:WORD_1
	v_subrev_u32_e32 v8, 28, v7
	v_and_b32_e32 v6, 15, v6
	v_lshlrev_b32_e32 v8, v8, v4
	v_sub_u32_e32 v7, 29, v7
	v_and_b32_e32 v8, 7, v8
	v_cmp_eq_u16_e32 vcc, 0, v6
	v_lshrrev_b16_sdwa v5, v44, v98 dst_sel:DWORD dst_unused:UNUSED_PAD src0_sel:DWORD src1_sel:WORD_1
	v_cndmask_b32_e32 v4, v4, v8, vcc
	v_cndmask_b32_e32 v6, v6, v7, vcc
	v_lshlrev_b32_e32 v4, 20, v4
	v_lshlrev_b32_e32 v5, 31, v5
	v_lshl_add_u32 v6, v6, 23, v126
	v_or3_b32 v4, v5, v6, v4
.LBB4_682:                              ;   in Loop: Header=BB4_62 Depth=1
	s_or_b64 exec, exec, s[6:7]
	v_cmp_gt_i16_sdwa s[6:7], v99, s24 src0_sel:BYTE_0 src1_sel:DWORD
	s_mov_b64 s[4:5], 0
                                        ; implicit-def: $sgpr10
	s_and_saveexec_b64 s[8:9], s[6:7]
	s_xor_b64 s[6:7], exec, s[8:9]
	s_cbranch_execnz .LBB4_1705
; %bb.683:                              ;   in Loop: Header=BB4_62 Depth=1
	s_or_saveexec_b64 s[6:7], s[6:7]
	v_mov_b32_e32 v5, s10
	s_xor_b64 exec, exec, s[6:7]
	s_cbranch_execnz .LBB4_1708
.LBB4_684:                              ;   in Loop: Header=BB4_62 Depth=1
	s_or_b64 exec, exec, s[6:7]
	s_and_saveexec_b64 s[6:7], s[4:5]
	s_cbranch_execz .LBB4_686
.LBB4_685:                              ;   in Loop: Header=BB4_62 Depth=1
	v_and_b32_e32 v5, 7, v99
	v_ffbh_u32_e32 v8, v5
	v_min_u32_e32 v8, 32, v8
	v_lshrrev_b16_e32 v7, 3, v99
	v_subrev_u32_e32 v9, 28, v8
	v_and_b32_e32 v7, 15, v7
	v_lshlrev_b32_e32 v9, v9, v5
	v_sub_u32_e32 v8, 29, v8
	v_and_b32_e32 v9, 7, v9
	v_cmp_eq_u16_e32 vcc, 0, v7
	v_lshrrev_b16_e32 v6, 7, v99
	v_cndmask_b32_e32 v5, v5, v9, vcc
	v_cndmask_b32_e32 v7, v7, v8, vcc
	v_lshlrev_b32_e32 v5, 20, v5
	v_lshlrev_b32_e32 v6, 31, v6
	v_lshl_add_u32 v7, v7, 23, v126
	v_or3_b32 v5, v6, v7, v5
.LBB4_686:                              ;   in Loop: Header=BB4_62 Depth=1
	s_or_b64 exec, exec, s[6:7]
	v_cmp_gt_i16_sdwa s[6:7], v99, s24 src0_sel:BYTE_1 src1_sel:DWORD
	s_mov_b64 s[4:5], 0
                                        ; implicit-def: $sgpr10
	s_and_saveexec_b64 s[8:9], s[6:7]
	s_xor_b64 s[6:7], exec, s[8:9]
	s_cbranch_execnz .LBB4_1709
; %bb.687:                              ;   in Loop: Header=BB4_62 Depth=1
	s_or_saveexec_b64 s[6:7], s[6:7]
	v_mov_b32_e32 v6, s10
	s_xor_b64 exec, exec, s[6:7]
	s_cbranch_execnz .LBB4_1712
.LBB4_688:                              ;   in Loop: Header=BB4_62 Depth=1
	s_or_b64 exec, exec, s[6:7]
	s_and_saveexec_b64 s[6:7], s[4:5]
	s_cbranch_execz .LBB4_690
.LBB4_689:                              ;   in Loop: Header=BB4_62 Depth=1
	v_and_b32_sdwa v6, v99, v116 dst_sel:DWORD dst_unused:UNUSED_PAD src0_sel:BYTE_1 src1_sel:DWORD
	v_ffbh_u32_e32 v9, v6
	v_min_u32_e32 v9, 32, v9
	v_lshrrev_b16_e32 v8, 11, v99
	v_subrev_u32_e32 v10, 28, v9
	v_and_b32_e32 v8, 15, v8
	v_lshlrev_b32_e32 v10, v10, v6
	v_sub_u32_e32 v9, 29, v9
	v_and_b32_e32 v10, 7, v10
	v_cmp_eq_u16_e32 vcc, 0, v8
	v_lshrrev_b16_e32 v7, 15, v99
	v_cndmask_b32_e32 v6, v6, v10, vcc
	v_cndmask_b32_e32 v8, v8, v9, vcc
	v_lshlrev_b32_e32 v6, 20, v6
	v_lshlrev_b32_e32 v7, 31, v7
	v_lshl_add_u32 v8, v8, 23, v126
	v_or3_b32 v6, v7, v8, v6
.LBB4_690:                              ;   in Loop: Header=BB4_62 Depth=1
	s_or_b64 exec, exec, s[6:7]
	v_and_b32_sdwa v8, v99, s23 dst_sel:DWORD dst_unused:UNUSED_PAD src0_sel:WORD_1 src1_sel:DWORD
	v_cmp_lt_i16_e32 vcc, s24, v8
	s_mov_b64 s[4:5], 0
                                        ; implicit-def: $sgpr10
	s_and_saveexec_b64 s[6:7], vcc
	s_xor_b64 s[6:7], exec, s[6:7]
	s_cbranch_execnz .LBB4_1713
; %bb.691:                              ;   in Loop: Header=BB4_62 Depth=1
	s_or_saveexec_b64 s[6:7], s[6:7]
	v_mov_b32_e32 v7, s10
	s_xor_b64 exec, exec, s[6:7]
	s_cbranch_execnz .LBB4_1716
.LBB4_692:                              ;   in Loop: Header=BB4_62 Depth=1
	s_or_b64 exec, exec, s[6:7]
	s_and_saveexec_b64 s[6:7], s[4:5]
	s_cbranch_execz .LBB4_694
.LBB4_693:                              ;   in Loop: Header=BB4_62 Depth=1
	v_and_b32_sdwa v7, v99, v116 dst_sel:DWORD dst_unused:UNUSED_PAD src0_sel:WORD_1 src1_sel:DWORD
	v_ffbh_u32_e32 v10, v7
	v_min_u32_e32 v10, 32, v10
	v_lshrrev_b16_sdwa v9, v117, v99 dst_sel:DWORD dst_unused:UNUSED_PAD src0_sel:DWORD src1_sel:WORD_1
	v_subrev_u32_e32 v11, 28, v10
	v_and_b32_e32 v9, 15, v9
	v_lshlrev_b32_e32 v11, v11, v7
	v_sub_u32_e32 v10, 29, v10
	v_and_b32_e32 v11, 7, v11
	v_cmp_eq_u16_e32 vcc, 0, v9
	v_lshrrev_b16_sdwa v8, v116, v99 dst_sel:DWORD dst_unused:UNUSED_PAD src0_sel:DWORD src1_sel:WORD_1
	v_cndmask_b32_e32 v7, v7, v11, vcc
	v_cndmask_b32_e32 v9, v9, v10, vcc
	v_lshlrev_b32_e32 v7, 20, v7
	v_lshlrev_b32_e32 v8, 31, v8
	v_lshl_add_u32 v9, v9, 23, v126
	v_or3_b32 v7, v8, v9, v7
.LBB4_694:                              ;   in Loop: Header=BB4_62 Depth=1
	s_or_b64 exec, exec, s[6:7]
	v_lshrrev_b16_sdwa v98, v124, v99 dst_sel:DWORD dst_unused:UNUSED_PAD src0_sel:DWORD src1_sel:WORD_1
	v_cmp_lt_i16_e32 vcc, s24, v98
	s_mov_b64 s[4:5], 0
                                        ; implicit-def: $sgpr10
	s_and_saveexec_b64 s[6:7], vcc
	s_xor_b64 s[6:7], exec, s[6:7]
	s_cbranch_execnz .LBB4_1717
; %bb.695:                              ;   in Loop: Header=BB4_62 Depth=1
	s_or_saveexec_b64 s[6:7], s[6:7]
	v_mov_b32_e32 v76, s10
	s_xor_b64 exec, exec, s[6:7]
	s_cbranch_execnz .LBB4_1720
.LBB4_696:                              ;   in Loop: Header=BB4_62 Depth=1
	s_or_b64 exec, exec, s[6:7]
	s_and_saveexec_b64 s[6:7], s[4:5]
	s_cbranch_execz .LBB4_698
.LBB4_697:                              ;   in Loop: Header=BB4_62 Depth=1
	v_and_b32_e32 v8, 7, v98
	v_ffbh_u32_e32 v11, v8
	v_min_u32_e32 v11, 32, v11
	v_lshrrev_b16_sdwa v10, v60, v99 dst_sel:DWORD dst_unused:UNUSED_PAD src0_sel:DWORD src1_sel:WORD_1
	v_subrev_u32_e32 v98, 28, v11
	v_and_b32_e32 v10, 15, v10
	v_lshlrev_b32_e32 v98, v98, v8
	v_sub_u32_e32 v11, 29, v11
	v_and_b32_e32 v98, 7, v98
	v_cmp_eq_u16_e32 vcc, 0, v10
	v_lshrrev_b16_sdwa v9, v44, v99 dst_sel:DWORD dst_unused:UNUSED_PAD src0_sel:DWORD src1_sel:WORD_1
	v_cndmask_b32_e32 v8, v8, v98, vcc
	v_cndmask_b32_e32 v10, v10, v11, vcc
	v_lshlrev_b32_e32 v8, 20, v8
	v_lshlrev_b32_e32 v9, 31, v9
	v_lshl_add_u32 v10, v10, 23, v126
	v_or3_b32 v76, v9, v10, v8
.LBB4_698:                              ;   in Loop: Header=BB4_62 Depth=1
	s_or_b64 exec, exec, s[6:7]
	v_cvt_pkrtz_f16_f32 v0, v0, v1
	v_cvt_pkrtz_f16_f32 v1, v2, v3
	v_cvt_pkrtz_f16_f32 v5, v5, v6
	v_cvt_pkrtz_f16_f32 v2, v96, v114
	v_cvt_pkrtz_f16_f32 v3, v115, v63
	v_cvt_pkrtz_f16_f32 v6, v97, v74
	v_cvt_pkrtz_f16_f32 v4, v75, v4
	v_cvt_pkrtz_f16_f32 v7, v7, v76
	buffer_store_dword v1, off, s[0:3], s33 offset:4
	buffer_store_dword v0, off, s[0:3], s33
	buffer_store_dword v3, off, s[0:3], s33 offset:12
	buffer_store_dword v2, off, s[0:3], s33 offset:8
	;; [unrolled: 1-line block ×6, first 2 shown]
	v_accvgpr_write_b32 a28, v78
	v_accvgpr_write_b32 a29, v79
	flat_load_dwordx2 v[76:77], v[102:103] offset:332
	flat_load_dwordx2 v[78:79], v[102:103] offset:296
	flat_load_dword v63, v[102:103] offset:324
	flat_load_dwordx2 v[74:75], v[102:103] offset:284
	s_mov_b64 s[4:5], 0
                                        ; implicit-def: $sgpr10
	s_waitcnt vmcnt(0) lgkmcnt(0)
	v_add_u32_e32 v0, 16, v77
	v_ashrrev_i32_e32 v1, 31, v78
	v_ashrrev_i32_e32 v3, 31, v0
	v_sub_u32_e32 v2, v78, v75
	v_lshrrev_b32_e32 v1, 28, v1
	v_lshl_add_u32 v2, v2, 8, v61
	v_lshrrev_b32_e32 v3, 28, v3
	v_add_u32_e32 v1, v78, v1
	v_sub_u32_e32 v89, v2, v76
	v_add_u32_e32 v2, v0, v3
	v_sub_u32_e32 v88, v79, v63
	v_and_b32_e32 v1, -16, v1
	v_ashrrev_i32_e32 v3, 4, v2
	v_and_b32_e32 v2, -16, v2
	v_sub_u32_e32 v90, v78, v1
	v_sub_u32_e32 v2, v0, v2
	v_add_u32_e32 v0, v3, v88
	v_xor_b32_e32 v0, v0, v90
	v_sub_u32_e32 v0, v0, v74
	v_lshlrev_b32_e32 v0, 4, v0
	v_add3_u32 v0, v2, v89, v0
	v_ashrrev_i32_e32 v1, 31, v0
	v_add_co_u32_e32 v0, vcc, v72, v0
	v_addc_co_u32_e32 v1, vcc, v73, v1, vcc
	flat_load_dwordx4 v[96:99], v[0:1]
	s_waitcnt vmcnt(0) lgkmcnt(0)
	v_cmp_gt_i16_sdwa s[6:7], v96, s24 src0_sel:BYTE_0 src1_sel:DWORD
	s_and_saveexec_b64 s[8:9], s[6:7]
	s_xor_b64 s[6:7], exec, s[8:9]
	s_cbranch_execnz .LBB4_1721
; %bb.699:                              ;   in Loop: Header=BB4_62 Depth=1
	s_or_saveexec_b64 s[6:7], s[6:7]
	v_mov_b32_e32 v0, s10
	s_xor_b64 exec, exec, s[6:7]
	s_cbranch_execnz .LBB4_1724
.LBB4_700:                              ;   in Loop: Header=BB4_62 Depth=1
	s_or_b64 exec, exec, s[6:7]
	s_and_saveexec_b64 s[6:7], s[4:5]
	s_cbranch_execz .LBB4_702
.LBB4_701:                              ;   in Loop: Header=BB4_62 Depth=1
	v_and_b32_e32 v0, 7, v96
	v_ffbh_u32_e32 v5, v0
	v_min_u32_e32 v5, 32, v5
	v_lshrrev_b16_e32 v4, 3, v96
	v_subrev_u32_e32 v6, 28, v5
	v_and_b32_e32 v4, 15, v4
	v_lshlrev_b32_e32 v6, v6, v0
	v_sub_u32_e32 v5, 29, v5
	v_and_b32_e32 v6, 7, v6
	v_cmp_eq_u16_e32 vcc, 0, v4
	v_lshrrev_b16_e32 v1, 7, v96
	v_cndmask_b32_e32 v0, v0, v6, vcc
	v_cndmask_b32_e32 v4, v4, v5, vcc
	v_lshlrev_b32_e32 v0, 20, v0
	v_lshlrev_b32_e32 v1, 31, v1
	v_lshl_add_u32 v4, v4, 23, v126
	v_or3_b32 v0, v1, v4, v0
.LBB4_702:                              ;   in Loop: Header=BB4_62 Depth=1
	s_or_b64 exec, exec, s[6:7]
	v_cmp_gt_i16_sdwa s[6:7], v96, s24 src0_sel:BYTE_1 src1_sel:DWORD
	s_mov_b64 s[4:5], 0
                                        ; implicit-def: $sgpr10
	s_and_saveexec_b64 s[8:9], s[6:7]
	s_xor_b64 s[6:7], exec, s[8:9]
	s_cbranch_execnz .LBB4_1725
; %bb.703:                              ;   in Loop: Header=BB4_62 Depth=1
	s_or_saveexec_b64 s[6:7], s[6:7]
	v_mov_b32_e32 v1, s10
	s_xor_b64 exec, exec, s[6:7]
	s_cbranch_execnz .LBB4_1728
.LBB4_704:                              ;   in Loop: Header=BB4_62 Depth=1
	s_or_b64 exec, exec, s[6:7]
	s_and_saveexec_b64 s[6:7], s[4:5]
	s_cbranch_execz .LBB4_706
.LBB4_705:                              ;   in Loop: Header=BB4_62 Depth=1
	v_and_b32_sdwa v1, v96, v116 dst_sel:DWORD dst_unused:UNUSED_PAD src0_sel:BYTE_1 src1_sel:DWORD
	v_ffbh_u32_e32 v6, v1
	v_min_u32_e32 v6, 32, v6
	v_lshrrev_b16_e32 v5, 11, v96
	v_subrev_u32_e32 v7, 28, v6
	v_and_b32_e32 v5, 15, v5
	v_lshlrev_b32_e32 v7, v7, v1
	v_sub_u32_e32 v6, 29, v6
	v_and_b32_e32 v7, 7, v7
	v_cmp_eq_u16_e32 vcc, 0, v5
	v_lshrrev_b16_e32 v4, 15, v96
	v_cndmask_b32_e32 v1, v1, v7, vcc
	v_cndmask_b32_e32 v5, v5, v6, vcc
	v_lshlrev_b32_e32 v1, 20, v1
	v_lshlrev_b32_e32 v4, 31, v4
	v_lshl_add_u32 v5, v5, 23, v126
	v_or3_b32 v1, v4, v5, v1
.LBB4_706:                              ;   in Loop: Header=BB4_62 Depth=1
	s_or_b64 exec, exec, s[6:7]
	v_and_b32_sdwa v4, v96, s23 dst_sel:DWORD dst_unused:UNUSED_PAD src0_sel:WORD_1 src1_sel:DWORD
	v_cmp_lt_i16_e32 vcc, s24, v4
	s_mov_b64 s[4:5], 0
                                        ; implicit-def: $sgpr10
	s_and_saveexec_b64 s[6:7], vcc
	s_xor_b64 s[6:7], exec, s[6:7]
	s_cbranch_execnz .LBB4_1729
; %bb.707:                              ;   in Loop: Header=BB4_62 Depth=1
	s_or_saveexec_b64 s[6:7], s[6:7]
	v_mov_b32_e32 v114, s10
	s_xor_b64 exec, exec, s[6:7]
	s_cbranch_execnz .LBB4_1732
.LBB4_708:                              ;   in Loop: Header=BB4_62 Depth=1
	s_or_b64 exec, exec, s[6:7]
	s_and_saveexec_b64 s[6:7], s[4:5]
	s_cbranch_execz .LBB4_710
.LBB4_709:                              ;   in Loop: Header=BB4_62 Depth=1
	v_and_b32_sdwa v4, v96, v116 dst_sel:DWORD dst_unused:UNUSED_PAD src0_sel:WORD_1 src1_sel:DWORD
	v_ffbh_u32_e32 v7, v4
	v_min_u32_e32 v7, 32, v7
	v_lshrrev_b16_sdwa v6, v117, v96 dst_sel:DWORD dst_unused:UNUSED_PAD src0_sel:DWORD src1_sel:WORD_1
	v_subrev_u32_e32 v8, 28, v7
	v_and_b32_e32 v6, 15, v6
	v_lshlrev_b32_e32 v8, v8, v4
	v_sub_u32_e32 v7, 29, v7
	v_and_b32_e32 v8, 7, v8
	v_cmp_eq_u16_e32 vcc, 0, v6
	v_lshrrev_b16_sdwa v5, v116, v96 dst_sel:DWORD dst_unused:UNUSED_PAD src0_sel:DWORD src1_sel:WORD_1
	v_cndmask_b32_e32 v4, v4, v8, vcc
	v_cndmask_b32_e32 v6, v6, v7, vcc
	v_lshlrev_b32_e32 v4, 20, v4
	v_lshlrev_b32_e32 v5, 31, v5
	v_lshl_add_u32 v6, v6, 23, v126
	v_or3_b32 v114, v5, v6, v4
.LBB4_710:                              ;   in Loop: Header=BB4_62 Depth=1
	s_or_b64 exec, exec, s[6:7]
	v_lshrrev_b16_sdwa v4, v124, v96 dst_sel:DWORD dst_unused:UNUSED_PAD src0_sel:DWORD src1_sel:WORD_1
	v_cmp_lt_i16_e32 vcc, s24, v4
	s_mov_b64 s[4:5], 0
                                        ; implicit-def: $sgpr10
	s_and_saveexec_b64 s[6:7], vcc
	s_xor_b64 s[6:7], exec, s[6:7]
	s_cbranch_execnz .LBB4_1733
; %bb.711:                              ;   in Loop: Header=BB4_62 Depth=1
	s_or_saveexec_b64 s[6:7], s[6:7]
	v_mov_b32_e32 v115, s10
	s_xor_b64 exec, exec, s[6:7]
	s_cbranch_execnz .LBB4_1736
.LBB4_712:                              ;   in Loop: Header=BB4_62 Depth=1
	s_or_b64 exec, exec, s[6:7]
	s_and_saveexec_b64 s[6:7], s[4:5]
	s_cbranch_execz .LBB4_714
.LBB4_713:                              ;   in Loop: Header=BB4_62 Depth=1
	v_and_b32_e32 v4, 7, v4
	v_ffbh_u32_e32 v7, v4
	v_min_u32_e32 v7, 32, v7
	v_lshrrev_b16_sdwa v6, v60, v96 dst_sel:DWORD dst_unused:UNUSED_PAD src0_sel:DWORD src1_sel:WORD_1
	v_subrev_u32_e32 v8, 28, v7
	v_and_b32_e32 v6, 15, v6
	v_lshlrev_b32_e32 v8, v8, v4
	v_sub_u32_e32 v7, 29, v7
	v_and_b32_e32 v8, 7, v8
	v_cmp_eq_u16_e32 vcc, 0, v6
	v_lshrrev_b16_sdwa v5, v44, v96 dst_sel:DWORD dst_unused:UNUSED_PAD src0_sel:DWORD src1_sel:WORD_1
	v_cndmask_b32_e32 v4, v4, v8, vcc
	v_cndmask_b32_e32 v6, v6, v7, vcc
	v_lshlrev_b32_e32 v4, 20, v4
	v_lshlrev_b32_e32 v5, 31, v5
	v_lshl_add_u32 v6, v6, 23, v126
	v_or3_b32 v115, v5, v6, v4
.LBB4_714:                              ;   in Loop: Header=BB4_62 Depth=1
	s_or_b64 exec, exec, s[6:7]
	v_cmp_gt_i16_sdwa s[6:7], v97, s24 src0_sel:BYTE_0 src1_sel:DWORD
	s_mov_b64 s[4:5], 0
                                        ; implicit-def: $sgpr10
	s_and_saveexec_b64 s[8:9], s[6:7]
	s_xor_b64 s[6:7], exec, s[8:9]
	s_cbranch_execnz .LBB4_1737
; %bb.715:                              ;   in Loop: Header=BB4_62 Depth=1
	s_or_saveexec_b64 s[6:7], s[6:7]
	v_mov_b32_e32 v96, s10
	s_xor_b64 exec, exec, s[6:7]
	s_cbranch_execnz .LBB4_1740
.LBB4_716:                              ;   in Loop: Header=BB4_62 Depth=1
	s_or_b64 exec, exec, s[6:7]
	s_and_saveexec_b64 s[6:7], s[4:5]
	s_cbranch_execz .LBB4_718
.LBB4_717:                              ;   in Loop: Header=BB4_62 Depth=1
	v_and_b32_e32 v4, 7, v97
	v_ffbh_u32_e32 v7, v4
	v_min_u32_e32 v7, 32, v7
	v_lshrrev_b16_e32 v6, 3, v97
	v_subrev_u32_e32 v8, 28, v7
	v_and_b32_e32 v6, 15, v6
	v_lshlrev_b32_e32 v8, v8, v4
	v_sub_u32_e32 v7, 29, v7
	v_and_b32_e32 v8, 7, v8
	v_cmp_eq_u16_e32 vcc, 0, v6
	v_lshrrev_b16_e32 v5, 7, v97
	v_cndmask_b32_e32 v4, v4, v8, vcc
	v_cndmask_b32_e32 v6, v6, v7, vcc
	v_lshlrev_b32_e32 v4, 20, v4
	v_lshlrev_b32_e32 v5, 31, v5
	v_lshl_add_u32 v6, v6, 23, v126
	v_or3_b32 v96, v5, v6, v4
.LBB4_718:                              ;   in Loop: Header=BB4_62 Depth=1
	s_or_b64 exec, exec, s[6:7]
	v_cmp_gt_i16_sdwa s[6:7], v97, s24 src0_sel:BYTE_1 src1_sel:DWORD
	s_mov_b64 s[4:5], 0
                                        ; implicit-def: $sgpr10
	s_and_saveexec_b64 s[8:9], s[6:7]
	s_xor_b64 s[6:7], exec, s[8:9]
	s_cbranch_execnz .LBB4_1741
; %bb.719:                              ;   in Loop: Header=BB4_62 Depth=1
	s_or_saveexec_b64 s[6:7], s[6:7]
	v_mov_b32_e32 v91, s10
	s_xor_b64 exec, exec, s[6:7]
	s_cbranch_execnz .LBB4_1744
.LBB4_720:                              ;   in Loop: Header=BB4_62 Depth=1
	s_or_b64 exec, exec, s[6:7]
	s_and_saveexec_b64 s[6:7], s[4:5]
	s_cbranch_execz .LBB4_722
.LBB4_721:                              ;   in Loop: Header=BB4_62 Depth=1
	v_and_b32_sdwa v4, v97, v116 dst_sel:DWORD dst_unused:UNUSED_PAD src0_sel:BYTE_1 src1_sel:DWORD
	v_ffbh_u32_e32 v7, v4
	v_min_u32_e32 v7, 32, v7
	v_lshrrev_b16_e32 v6, 11, v97
	v_subrev_u32_e32 v8, 28, v7
	v_and_b32_e32 v6, 15, v6
	v_lshlrev_b32_e32 v8, v8, v4
	v_sub_u32_e32 v7, 29, v7
	v_and_b32_e32 v8, 7, v8
	v_cmp_eq_u16_e32 vcc, 0, v6
	v_lshrrev_b16_e32 v5, 15, v97
	v_cndmask_b32_e32 v4, v4, v8, vcc
	v_cndmask_b32_e32 v6, v6, v7, vcc
	v_lshlrev_b32_e32 v4, 20, v4
	v_lshlrev_b32_e32 v5, 31, v5
	v_lshl_add_u32 v6, v6, 23, v126
	v_or3_b32 v91, v5, v6, v4
.LBB4_722:                              ;   in Loop: Header=BB4_62 Depth=1
	s_or_b64 exec, exec, s[6:7]
	v_and_b32_sdwa v4, v97, s23 dst_sel:DWORD dst_unused:UNUSED_PAD src0_sel:WORD_1 src1_sel:DWORD
	v_cmp_lt_i16_e32 vcc, s24, v4
	s_mov_b64 s[4:5], 0
                                        ; implicit-def: $sgpr10
	s_and_saveexec_b64 s[6:7], vcc
	s_xor_b64 s[6:7], exec, s[6:7]
	s_cbranch_execnz .LBB4_1745
; %bb.723:                              ;   in Loop: Header=BB4_62 Depth=1
	s_or_saveexec_b64 s[6:7], s[6:7]
	v_mov_b32_e32 v92, s10
	s_xor_b64 exec, exec, s[6:7]
	s_cbranch_execnz .LBB4_1748
.LBB4_724:                              ;   in Loop: Header=BB4_62 Depth=1
	s_or_b64 exec, exec, s[6:7]
	s_and_saveexec_b64 s[6:7], s[4:5]
	s_cbranch_execz .LBB4_726
.LBB4_725:                              ;   in Loop: Header=BB4_62 Depth=1
	v_and_b32_sdwa v4, v97, v116 dst_sel:DWORD dst_unused:UNUSED_PAD src0_sel:WORD_1 src1_sel:DWORD
	v_ffbh_u32_e32 v7, v4
	v_min_u32_e32 v7, 32, v7
	v_lshrrev_b16_sdwa v6, v117, v97 dst_sel:DWORD dst_unused:UNUSED_PAD src0_sel:DWORD src1_sel:WORD_1
	v_subrev_u32_e32 v8, 28, v7
	v_and_b32_e32 v6, 15, v6
	v_lshlrev_b32_e32 v8, v8, v4
	v_sub_u32_e32 v7, 29, v7
	v_and_b32_e32 v8, 7, v8
	v_cmp_eq_u16_e32 vcc, 0, v6
	v_lshrrev_b16_sdwa v5, v116, v97 dst_sel:DWORD dst_unused:UNUSED_PAD src0_sel:DWORD src1_sel:WORD_1
	v_cndmask_b32_e32 v4, v4, v8, vcc
	v_cndmask_b32_e32 v6, v6, v7, vcc
	v_lshlrev_b32_e32 v4, 20, v4
	v_lshlrev_b32_e32 v5, 31, v5
	v_lshl_add_u32 v6, v6, 23, v126
	v_or3_b32 v92, v5, v6, v4
.LBB4_726:                              ;   in Loop: Header=BB4_62 Depth=1
	s_or_b64 exec, exec, s[6:7]
	v_lshrrev_b16_sdwa v4, v124, v97 dst_sel:DWORD dst_unused:UNUSED_PAD src0_sel:DWORD src1_sel:WORD_1
	v_cmp_lt_i16_e32 vcc, s24, v4
	s_mov_b64 s[4:5], 0
                                        ; implicit-def: $sgpr10
	s_and_saveexec_b64 s[6:7], vcc
	s_xor_b64 s[6:7], exec, s[6:7]
	s_cbranch_execnz .LBB4_1749
; %bb.727:                              ;   in Loop: Header=BB4_62 Depth=1
	s_or_saveexec_b64 s[6:7], s[6:7]
	v_mov_b32_e32 v93, s10
	s_xor_b64 exec, exec, s[6:7]
	s_cbranch_execnz .LBB4_1752
.LBB4_728:                              ;   in Loop: Header=BB4_62 Depth=1
	s_or_b64 exec, exec, s[6:7]
	s_and_saveexec_b64 s[6:7], s[4:5]
	s_cbranch_execz .LBB4_730
.LBB4_729:                              ;   in Loop: Header=BB4_62 Depth=1
	v_and_b32_e32 v4, 7, v4
	v_ffbh_u32_e32 v7, v4
	v_min_u32_e32 v7, 32, v7
	v_lshrrev_b16_sdwa v6, v60, v97 dst_sel:DWORD dst_unused:UNUSED_PAD src0_sel:DWORD src1_sel:WORD_1
	v_subrev_u32_e32 v8, 28, v7
	v_and_b32_e32 v6, 15, v6
	v_lshlrev_b32_e32 v8, v8, v4
	v_sub_u32_e32 v7, 29, v7
	v_and_b32_e32 v8, 7, v8
	v_cmp_eq_u16_e32 vcc, 0, v6
	v_lshrrev_b16_sdwa v5, v44, v97 dst_sel:DWORD dst_unused:UNUSED_PAD src0_sel:DWORD src1_sel:WORD_1
	v_cndmask_b32_e32 v4, v4, v8, vcc
	v_cndmask_b32_e32 v6, v6, v7, vcc
	v_lshlrev_b32_e32 v4, 20, v4
	v_lshlrev_b32_e32 v5, 31, v5
	v_lshl_add_u32 v6, v6, 23, v126
	v_or3_b32 v93, v5, v6, v4
.LBB4_730:                              ;   in Loop: Header=BB4_62 Depth=1
	s_or_b64 exec, exec, s[6:7]
	v_cmp_gt_i16_sdwa s[6:7], v98, s24 src0_sel:BYTE_0 src1_sel:DWORD
	s_mov_b64 s[4:5], 0
                                        ; implicit-def: $sgpr10
	s_and_saveexec_b64 s[8:9], s[6:7]
	s_xor_b64 s[6:7], exec, s[8:9]
	s_cbranch_execnz .LBB4_1753
; %bb.731:                              ;   in Loop: Header=BB4_62 Depth=1
	s_or_saveexec_b64 s[6:7], s[6:7]
	v_mov_b32_e32 v97, s10
	s_xor_b64 exec, exec, s[6:7]
	s_cbranch_execnz .LBB4_1756
.LBB4_732:                              ;   in Loop: Header=BB4_62 Depth=1
	s_or_b64 exec, exec, s[6:7]
	s_and_saveexec_b64 s[6:7], s[4:5]
	s_cbranch_execz .LBB4_734
.LBB4_733:                              ;   in Loop: Header=BB4_62 Depth=1
	v_and_b32_e32 v4, 7, v98
	v_ffbh_u32_e32 v7, v4
	v_min_u32_e32 v7, 32, v7
	v_lshrrev_b16_e32 v6, 3, v98
	v_subrev_u32_e32 v8, 28, v7
	v_and_b32_e32 v6, 15, v6
	v_lshlrev_b32_e32 v8, v8, v4
	v_sub_u32_e32 v7, 29, v7
	v_and_b32_e32 v8, 7, v8
	v_cmp_eq_u16_e32 vcc, 0, v6
	v_lshrrev_b16_e32 v5, 7, v98
	v_cndmask_b32_e32 v4, v4, v8, vcc
	v_cndmask_b32_e32 v6, v6, v7, vcc
	v_lshlrev_b32_e32 v4, 20, v4
	v_lshlrev_b32_e32 v5, 31, v5
	v_lshl_add_u32 v6, v6, 23, v126
	v_or3_b32 v97, v5, v6, v4
.LBB4_734:                              ;   in Loop: Header=BB4_62 Depth=1
	s_or_b64 exec, exec, s[6:7]
	v_cmp_gt_i16_sdwa s[6:7], v98, s24 src0_sel:BYTE_1 src1_sel:DWORD
	s_mov_b64 s[4:5], 0
                                        ; implicit-def: $sgpr10
	s_and_saveexec_b64 s[8:9], s[6:7]
	s_xor_b64 s[6:7], exec, s[8:9]
	s_cbranch_execnz .LBB4_1757
; %bb.735:                              ;   in Loop: Header=BB4_62 Depth=1
	s_or_saveexec_b64 s[6:7], s[6:7]
	v_mov_b32_e32 v94, s10
	s_xor_b64 exec, exec, s[6:7]
	s_cbranch_execnz .LBB4_1760
.LBB4_736:                              ;   in Loop: Header=BB4_62 Depth=1
	s_or_b64 exec, exec, s[6:7]
	s_and_saveexec_b64 s[6:7], s[4:5]
	s_cbranch_execz .LBB4_738
.LBB4_737:                              ;   in Loop: Header=BB4_62 Depth=1
	v_and_b32_sdwa v4, v98, v116 dst_sel:DWORD dst_unused:UNUSED_PAD src0_sel:BYTE_1 src1_sel:DWORD
	v_ffbh_u32_e32 v7, v4
	v_min_u32_e32 v7, 32, v7
	v_lshrrev_b16_e32 v6, 11, v98
	v_subrev_u32_e32 v8, 28, v7
	v_and_b32_e32 v6, 15, v6
	v_lshlrev_b32_e32 v8, v8, v4
	v_sub_u32_e32 v7, 29, v7
	v_and_b32_e32 v8, 7, v8
	v_cmp_eq_u16_e32 vcc, 0, v6
	v_lshrrev_b16_e32 v5, 15, v98
	v_cndmask_b32_e32 v4, v4, v8, vcc
	v_cndmask_b32_e32 v6, v6, v7, vcc
	v_lshlrev_b32_e32 v4, 20, v4
	v_lshlrev_b32_e32 v5, 31, v5
	v_lshl_add_u32 v6, v6, 23, v126
	v_or3_b32 v94, v5, v6, v4
.LBB4_738:                              ;   in Loop: Header=BB4_62 Depth=1
	s_or_b64 exec, exec, s[6:7]
	v_and_b32_sdwa v4, v98, s23 dst_sel:DWORD dst_unused:UNUSED_PAD src0_sel:WORD_1 src1_sel:DWORD
	v_cmp_lt_i16_e32 vcc, s24, v4
	s_mov_b64 s[4:5], 0
                                        ; implicit-def: $sgpr10
	s_and_saveexec_b64 s[6:7], vcc
	s_xor_b64 s[6:7], exec, s[6:7]
	s_cbranch_execnz .LBB4_1761
; %bb.739:                              ;   in Loop: Header=BB4_62 Depth=1
	s_or_saveexec_b64 s[6:7], s[6:7]
	v_mov_b32_e32 v95, s10
	s_xor_b64 exec, exec, s[6:7]
	s_cbranch_execnz .LBB4_1764
.LBB4_740:                              ;   in Loop: Header=BB4_62 Depth=1
	s_or_b64 exec, exec, s[6:7]
	s_and_saveexec_b64 s[6:7], s[4:5]
	s_cbranch_execz .LBB4_742
.LBB4_741:                              ;   in Loop: Header=BB4_62 Depth=1
	v_and_b32_sdwa v4, v98, v116 dst_sel:DWORD dst_unused:UNUSED_PAD src0_sel:WORD_1 src1_sel:DWORD
	v_ffbh_u32_e32 v7, v4
	v_min_u32_e32 v7, 32, v7
	v_lshrrev_b16_sdwa v6, v117, v98 dst_sel:DWORD dst_unused:UNUSED_PAD src0_sel:DWORD src1_sel:WORD_1
	v_subrev_u32_e32 v8, 28, v7
	v_and_b32_e32 v6, 15, v6
	v_lshlrev_b32_e32 v8, v8, v4
	v_sub_u32_e32 v7, 29, v7
	v_and_b32_e32 v8, 7, v8
	v_cmp_eq_u16_e32 vcc, 0, v6
	v_lshrrev_b16_sdwa v5, v116, v98 dst_sel:DWORD dst_unused:UNUSED_PAD src0_sel:DWORD src1_sel:WORD_1
	v_cndmask_b32_e32 v4, v4, v8, vcc
	v_cndmask_b32_e32 v6, v6, v7, vcc
	v_lshlrev_b32_e32 v4, 20, v4
	v_lshlrev_b32_e32 v5, 31, v5
	v_lshl_add_u32 v6, v6, 23, v126
	v_or3_b32 v95, v5, v6, v4
.LBB4_742:                              ;   in Loop: Header=BB4_62 Depth=1
	s_or_b64 exec, exec, s[6:7]
	v_lshrrev_b16_sdwa v5, v124, v98 dst_sel:DWORD dst_unused:UNUSED_PAD src0_sel:DWORD src1_sel:WORD_1
	v_cmp_lt_i16_e32 vcc, s24, v5
	s_mov_b64 s[4:5], 0
                                        ; implicit-def: $sgpr10
	s_and_saveexec_b64 s[6:7], vcc
	s_xor_b64 s[6:7], exec, s[6:7]
	s_cbranch_execnz .LBB4_1765
; %bb.743:                              ;   in Loop: Header=BB4_62 Depth=1
	s_or_saveexec_b64 s[6:7], s[6:7]
	v_mov_b32_e32 v4, s10
	s_xor_b64 exec, exec, s[6:7]
	s_cbranch_execnz .LBB4_1768
.LBB4_744:                              ;   in Loop: Header=BB4_62 Depth=1
	s_or_b64 exec, exec, s[6:7]
	s_and_saveexec_b64 s[6:7], s[4:5]
	s_cbranch_execz .LBB4_746
.LBB4_745:                              ;   in Loop: Header=BB4_62 Depth=1
	v_and_b32_e32 v4, 7, v5
	v_ffbh_u32_e32 v7, v4
	v_min_u32_e32 v7, 32, v7
	v_lshrrev_b16_sdwa v6, v60, v98 dst_sel:DWORD dst_unused:UNUSED_PAD src0_sel:DWORD src1_sel:WORD_1
	v_subrev_u32_e32 v8, 28, v7
	v_and_b32_e32 v6, 15, v6
	v_lshlrev_b32_e32 v8, v8, v4
	v_sub_u32_e32 v7, 29, v7
	v_and_b32_e32 v8, 7, v8
	v_cmp_eq_u16_e32 vcc, 0, v6
	v_lshrrev_b16_sdwa v5, v44, v98 dst_sel:DWORD dst_unused:UNUSED_PAD src0_sel:DWORD src1_sel:WORD_1
	v_cndmask_b32_e32 v4, v4, v8, vcc
	v_cndmask_b32_e32 v6, v6, v7, vcc
	v_lshlrev_b32_e32 v4, 20, v4
	v_lshlrev_b32_e32 v5, 31, v5
	v_lshl_add_u32 v6, v6, 23, v126
	v_or3_b32 v4, v5, v6, v4
.LBB4_746:                              ;   in Loop: Header=BB4_62 Depth=1
	s_or_b64 exec, exec, s[6:7]
	v_cmp_gt_i16_sdwa s[6:7], v99, s24 src0_sel:BYTE_0 src1_sel:DWORD
	s_mov_b64 s[4:5], 0
                                        ; implicit-def: $sgpr10
	s_and_saveexec_b64 s[8:9], s[6:7]
	s_xor_b64 s[6:7], exec, s[8:9]
	s_cbranch_execnz .LBB4_1769
; %bb.747:                              ;   in Loop: Header=BB4_62 Depth=1
	s_or_saveexec_b64 s[6:7], s[6:7]
	v_mov_b32_e32 v5, s10
	s_xor_b64 exec, exec, s[6:7]
	s_cbranch_execnz .LBB4_1772
.LBB4_748:                              ;   in Loop: Header=BB4_62 Depth=1
	s_or_b64 exec, exec, s[6:7]
	s_and_saveexec_b64 s[6:7], s[4:5]
	s_cbranch_execz .LBB4_750
.LBB4_749:                              ;   in Loop: Header=BB4_62 Depth=1
	v_and_b32_e32 v5, 7, v99
	v_ffbh_u32_e32 v8, v5
	v_min_u32_e32 v8, 32, v8
	v_lshrrev_b16_e32 v7, 3, v99
	v_subrev_u32_e32 v9, 28, v8
	v_and_b32_e32 v7, 15, v7
	v_lshlrev_b32_e32 v9, v9, v5
	v_sub_u32_e32 v8, 29, v8
	v_and_b32_e32 v9, 7, v9
	v_cmp_eq_u16_e32 vcc, 0, v7
	v_lshrrev_b16_e32 v6, 7, v99
	v_cndmask_b32_e32 v5, v5, v9, vcc
	v_cndmask_b32_e32 v7, v7, v8, vcc
	v_lshlrev_b32_e32 v5, 20, v5
	v_lshlrev_b32_e32 v6, 31, v6
	v_lshl_add_u32 v7, v7, 23, v126
	v_or3_b32 v5, v6, v7, v5
.LBB4_750:                              ;   in Loop: Header=BB4_62 Depth=1
	s_or_b64 exec, exec, s[6:7]
	v_cmp_gt_i16_sdwa s[6:7], v99, s24 src0_sel:BYTE_1 src1_sel:DWORD
	s_mov_b64 s[4:5], 0
                                        ; implicit-def: $sgpr10
	s_and_saveexec_b64 s[8:9], s[6:7]
	s_xor_b64 s[6:7], exec, s[8:9]
	s_cbranch_execnz .LBB4_1773
; %bb.751:                              ;   in Loop: Header=BB4_62 Depth=1
	s_or_saveexec_b64 s[6:7], s[6:7]
	v_mov_b32_e32 v6, s10
	s_xor_b64 exec, exec, s[6:7]
	s_cbranch_execnz .LBB4_1776
.LBB4_752:                              ;   in Loop: Header=BB4_62 Depth=1
	s_or_b64 exec, exec, s[6:7]
	s_and_saveexec_b64 s[6:7], s[4:5]
	s_cbranch_execz .LBB4_754
.LBB4_753:                              ;   in Loop: Header=BB4_62 Depth=1
	v_and_b32_sdwa v6, v99, v116 dst_sel:DWORD dst_unused:UNUSED_PAD src0_sel:BYTE_1 src1_sel:DWORD
	v_ffbh_u32_e32 v9, v6
	v_min_u32_e32 v9, 32, v9
	v_lshrrev_b16_e32 v8, 11, v99
	v_subrev_u32_e32 v10, 28, v9
	v_and_b32_e32 v8, 15, v8
	v_lshlrev_b32_e32 v10, v10, v6
	v_sub_u32_e32 v9, 29, v9
	v_and_b32_e32 v10, 7, v10
	v_cmp_eq_u16_e32 vcc, 0, v8
	v_lshrrev_b16_e32 v7, 15, v99
	v_cndmask_b32_e32 v6, v6, v10, vcc
	v_cndmask_b32_e32 v8, v8, v9, vcc
	v_lshlrev_b32_e32 v6, 20, v6
	v_lshlrev_b32_e32 v7, 31, v7
	v_lshl_add_u32 v8, v8, 23, v126
	v_or3_b32 v6, v7, v8, v6
.LBB4_754:                              ;   in Loop: Header=BB4_62 Depth=1
	s_or_b64 exec, exec, s[6:7]
	v_and_b32_sdwa v8, v99, s23 dst_sel:DWORD dst_unused:UNUSED_PAD src0_sel:WORD_1 src1_sel:DWORD
	v_cmp_lt_i16_e32 vcc, s24, v8
	s_mov_b64 s[4:5], 0
                                        ; implicit-def: $sgpr10
	s_and_saveexec_b64 s[6:7], vcc
	s_xor_b64 s[6:7], exec, s[6:7]
	s_cbranch_execnz .LBB4_1777
; %bb.755:                              ;   in Loop: Header=BB4_62 Depth=1
	s_or_saveexec_b64 s[6:7], s[6:7]
	v_mov_b32_e32 v7, s10
	s_xor_b64 exec, exec, s[6:7]
	s_cbranch_execnz .LBB4_1780
.LBB4_756:                              ;   in Loop: Header=BB4_62 Depth=1
	s_or_b64 exec, exec, s[6:7]
	s_and_saveexec_b64 s[6:7], s[4:5]
	s_cbranch_execz .LBB4_758
.LBB4_757:                              ;   in Loop: Header=BB4_62 Depth=1
	v_and_b32_sdwa v7, v99, v116 dst_sel:DWORD dst_unused:UNUSED_PAD src0_sel:WORD_1 src1_sel:DWORD
	v_ffbh_u32_e32 v10, v7
	v_min_u32_e32 v10, 32, v10
	v_lshrrev_b16_sdwa v9, v117, v99 dst_sel:DWORD dst_unused:UNUSED_PAD src0_sel:DWORD src1_sel:WORD_1
	v_subrev_u32_e32 v11, 28, v10
	v_and_b32_e32 v9, 15, v9
	v_lshlrev_b32_e32 v11, v11, v7
	v_sub_u32_e32 v10, 29, v10
	v_and_b32_e32 v11, 7, v11
	v_cmp_eq_u16_e32 vcc, 0, v9
	v_lshrrev_b16_sdwa v8, v116, v99 dst_sel:DWORD dst_unused:UNUSED_PAD src0_sel:DWORD src1_sel:WORD_1
	v_cndmask_b32_e32 v7, v7, v11, vcc
	v_cndmask_b32_e32 v9, v9, v10, vcc
	v_lshlrev_b32_e32 v7, 20, v7
	v_lshlrev_b32_e32 v8, 31, v8
	v_lshl_add_u32 v9, v9, 23, v126
	v_or3_b32 v7, v8, v9, v7
.LBB4_758:                              ;   in Loop: Header=BB4_62 Depth=1
	s_or_b64 exec, exec, s[6:7]
	v_lshrrev_b16_sdwa v98, v124, v99 dst_sel:DWORD dst_unused:UNUSED_PAD src0_sel:DWORD src1_sel:WORD_1
	v_cmp_lt_i16_e32 vcc, s24, v98
	s_mov_b64 s[4:5], 0
                                        ; implicit-def: $sgpr10
	s_and_saveexec_b64 s[6:7], vcc
	s_xor_b64 s[6:7], exec, s[6:7]
	s_cbranch_execnz .LBB4_1781
; %bb.759:                              ;   in Loop: Header=BB4_62 Depth=1
	s_or_saveexec_b64 s[6:7], s[6:7]
	v_mov_b32_e32 v104, s10
	s_xor_b64 exec, exec, s[6:7]
	s_cbranch_execnz .LBB4_1784
.LBB4_760:                              ;   in Loop: Header=BB4_62 Depth=1
	s_or_b64 exec, exec, s[6:7]
	s_and_saveexec_b64 s[6:7], s[4:5]
	s_cbranch_execz .LBB4_762
.LBB4_761:                              ;   in Loop: Header=BB4_62 Depth=1
	v_and_b32_e32 v8, 7, v98
	v_ffbh_u32_e32 v11, v8
	v_min_u32_e32 v11, 32, v11
	v_lshrrev_b16_sdwa v10, v60, v99 dst_sel:DWORD dst_unused:UNUSED_PAD src0_sel:DWORD src1_sel:WORD_1
	v_subrev_u32_e32 v98, 28, v11
	v_and_b32_e32 v10, 15, v10
	v_lshlrev_b32_e32 v98, v98, v8
	v_sub_u32_e32 v11, 29, v11
	v_and_b32_e32 v98, 7, v98
	v_cmp_eq_u16_e32 vcc, 0, v10
	v_lshrrev_b16_sdwa v9, v44, v99 dst_sel:DWORD dst_unused:UNUSED_PAD src0_sel:DWORD src1_sel:WORD_1
	v_cndmask_b32_e32 v8, v8, v98, vcc
	v_cndmask_b32_e32 v10, v10, v11, vcc
	v_lshlrev_b32_e32 v8, 20, v8
	v_lshlrev_b32_e32 v9, 31, v9
	v_lshl_add_u32 v10, v10, 23, v126
	v_or3_b32 v104, v9, v10, v8
.LBB4_762:                              ;   in Loop: Header=BB4_62 Depth=1
	s_or_b64 exec, exec, s[6:7]
	v_cvt_pkrtz_f16_f32 v0, v0, v1
	v_cvt_pkrtz_f16_f32 v1, v114, v115
	;; [unrolled: 1-line block ×8, first 2 shown]
	buffer_store_dword v1, off, s[0:3], s33 offset:36
	buffer_store_dword v0, off, s[0:3], s33 offset:32
	;; [unrolled: 1-line block ×8, first 2 shown]
	v_add_u32_e32 v0, 32, v77
	v_ashrrev_i32_e32 v1, 31, v0
	v_lshrrev_b32_e32 v1, 28, v1
	v_add_u32_e32 v4, v0, v1
	v_ashrrev_i32_e32 v1, 4, v4
	v_and_b32_e32 v4, -16, v4
	v_sub_u32_e32 v115, v0, v4
	v_add_u32_e32 v0, v1, v88
	v_xor_b32_e32 v0, v0, v90
	v_sub_u32_e32 v0, v0, v74
	v_lshlrev_b32_e32 v0, 4, v0
	v_add3_u32 v0, v115, v89, v0
	v_ashrrev_i32_e32 v5, 31, v0
	v_add_co_u32_e32 v4, vcc, v72, v0
	v_addc_co_u32_e32 v5, vcc, v73, v5, vcc
	flat_load_dwordx4 v[96:99], v[4:5]
	s_mov_b64 s[4:5], 0
                                        ; implicit-def: $sgpr10
	s_waitcnt vmcnt(0) lgkmcnt(0)
	v_cmp_gt_i16_sdwa s[6:7], v96, s24 src0_sel:BYTE_0 src1_sel:DWORD
	s_and_saveexec_b64 s[8:9], s[6:7]
	s_xor_b64 s[6:7], exec, s[8:9]
	s_cbranch_execnz .LBB4_1785
; %bb.763:                              ;   in Loop: Header=BB4_62 Depth=1
	s_or_saveexec_b64 s[6:7], s[6:7]
	v_mov_b32_e32 v0, s10
	s_xor_b64 exec, exec, s[6:7]
	s_cbranch_execnz .LBB4_1788
.LBB4_764:                              ;   in Loop: Header=BB4_62 Depth=1
	s_or_b64 exec, exec, s[6:7]
	s_and_saveexec_b64 s[6:7], s[4:5]
	s_cbranch_execz .LBB4_766
.LBB4_765:                              ;   in Loop: Header=BB4_62 Depth=1
	v_and_b32_e32 v0, 7, v96
	v_ffbh_u32_e32 v6, v0
	v_min_u32_e32 v6, 32, v6
	v_lshrrev_b16_e32 v5, 3, v96
	v_subrev_u32_e32 v7, 28, v6
	v_and_b32_e32 v5, 15, v5
	v_lshlrev_b32_e32 v7, v7, v0
	v_sub_u32_e32 v6, 29, v6
	v_and_b32_e32 v7, 7, v7
	v_cmp_eq_u16_e32 vcc, 0, v5
	v_lshrrev_b16_e32 v4, 7, v96
	v_cndmask_b32_e32 v0, v0, v7, vcc
	v_cndmask_b32_e32 v5, v5, v6, vcc
	v_lshlrev_b32_e32 v0, 20, v0
	v_lshlrev_b32_e32 v4, 31, v4
	v_lshl_add_u32 v5, v5, 23, v126
	v_or3_b32 v0, v4, v5, v0
.LBB4_766:                              ;   in Loop: Header=BB4_62 Depth=1
	s_or_b64 exec, exec, s[6:7]
	v_cmp_gt_i16_sdwa s[6:7], v96, s24 src0_sel:BYTE_1 src1_sel:DWORD
	s_mov_b64 s[4:5], 0
                                        ; implicit-def: $sgpr10
	s_and_saveexec_b64 s[8:9], s[6:7]
	s_xor_b64 s[6:7], exec, s[8:9]
	s_cbranch_execnz .LBB4_1789
; %bb.767:                              ;   in Loop: Header=BB4_62 Depth=1
	s_or_saveexec_b64 s[6:7], s[6:7]
	v_mov_b32_e32 v114, s10
	s_xor_b64 exec, exec, s[6:7]
	s_cbranch_execnz .LBB4_1792
.LBB4_768:                              ;   in Loop: Header=BB4_62 Depth=1
	s_or_b64 exec, exec, s[6:7]
	s_and_saveexec_b64 s[6:7], s[4:5]
	s_cbranch_execz .LBB4_770
.LBB4_769:                              ;   in Loop: Header=BB4_62 Depth=1
	v_and_b32_sdwa v4, v96, v116 dst_sel:DWORD dst_unused:UNUSED_PAD src0_sel:BYTE_1 src1_sel:DWORD
	v_ffbh_u32_e32 v7, v4
	v_min_u32_e32 v7, 32, v7
	v_lshrrev_b16_e32 v6, 11, v96
	v_subrev_u32_e32 v8, 28, v7
	v_and_b32_e32 v6, 15, v6
	v_lshlrev_b32_e32 v8, v8, v4
	v_sub_u32_e32 v7, 29, v7
	v_and_b32_e32 v8, 7, v8
	v_cmp_eq_u16_e32 vcc, 0, v6
	v_lshrrev_b16_e32 v5, 15, v96
	v_cndmask_b32_e32 v4, v4, v8, vcc
	v_cndmask_b32_e32 v6, v6, v7, vcc
	v_lshlrev_b32_e32 v4, 20, v4
	v_lshlrev_b32_e32 v5, 31, v5
	v_lshl_add_u32 v6, v6, 23, v126
	v_or3_b32 v114, v5, v6, v4
.LBB4_770:                              ;   in Loop: Header=BB4_62 Depth=1
	s_or_b64 exec, exec, s[6:7]
	v_and_b32_sdwa v4, v96, s23 dst_sel:DWORD dst_unused:UNUSED_PAD src0_sel:WORD_1 src1_sel:DWORD
	v_cmp_lt_i16_e32 vcc, s24, v4
	s_mov_b64 s[4:5], 0
                                        ; implicit-def: $sgpr10
	s_and_saveexec_b64 s[6:7], vcc
	s_xor_b64 s[6:7], exec, s[6:7]
	s_cbranch_execnz .LBB4_1793
; %bb.771:                              ;   in Loop: Header=BB4_62 Depth=1
	s_or_saveexec_b64 s[6:7], s[6:7]
	v_mov_b32_e32 v91, s10
	s_xor_b64 exec, exec, s[6:7]
	s_cbranch_execnz .LBB4_1796
.LBB4_772:                              ;   in Loop: Header=BB4_62 Depth=1
	s_or_b64 exec, exec, s[6:7]
	s_and_saveexec_b64 s[6:7], s[4:5]
	s_cbranch_execz .LBB4_774
.LBB4_773:                              ;   in Loop: Header=BB4_62 Depth=1
	v_and_b32_sdwa v4, v96, v116 dst_sel:DWORD dst_unused:UNUSED_PAD src0_sel:WORD_1 src1_sel:DWORD
	v_ffbh_u32_e32 v7, v4
	v_min_u32_e32 v7, 32, v7
	v_lshrrev_b16_sdwa v6, v117, v96 dst_sel:DWORD dst_unused:UNUSED_PAD src0_sel:DWORD src1_sel:WORD_1
	v_subrev_u32_e32 v8, 28, v7
	v_and_b32_e32 v6, 15, v6
	v_lshlrev_b32_e32 v8, v8, v4
	v_sub_u32_e32 v7, 29, v7
	v_and_b32_e32 v8, 7, v8
	v_cmp_eq_u16_e32 vcc, 0, v6
	v_lshrrev_b16_sdwa v5, v116, v96 dst_sel:DWORD dst_unused:UNUSED_PAD src0_sel:DWORD src1_sel:WORD_1
	v_cndmask_b32_e32 v4, v4, v8, vcc
	v_cndmask_b32_e32 v6, v6, v7, vcc
	v_lshlrev_b32_e32 v4, 20, v4
	v_lshlrev_b32_e32 v5, 31, v5
	v_lshl_add_u32 v6, v6, 23, v126
	v_or3_b32 v91, v5, v6, v4
.LBB4_774:                              ;   in Loop: Header=BB4_62 Depth=1
	s_or_b64 exec, exec, s[6:7]
	v_lshrrev_b16_sdwa v4, v124, v96 dst_sel:DWORD dst_unused:UNUSED_PAD src0_sel:DWORD src1_sel:WORD_1
	v_cmp_lt_i16_e32 vcc, s24, v4
	s_mov_b64 s[4:5], 0
                                        ; implicit-def: $sgpr10
	s_and_saveexec_b64 s[6:7], vcc
	s_xor_b64 s[6:7], exec, s[6:7]
	s_cbranch_execnz .LBB4_1797
; %bb.775:                              ;   in Loop: Header=BB4_62 Depth=1
	s_or_saveexec_b64 s[6:7], s[6:7]
	v_mov_b32_e32 v92, s10
	s_xor_b64 exec, exec, s[6:7]
	s_cbranch_execnz .LBB4_1800
.LBB4_776:                              ;   in Loop: Header=BB4_62 Depth=1
	s_or_b64 exec, exec, s[6:7]
	s_and_saveexec_b64 s[6:7], s[4:5]
	s_cbranch_execz .LBB4_778
.LBB4_777:                              ;   in Loop: Header=BB4_62 Depth=1
	v_and_b32_e32 v4, 7, v4
	v_ffbh_u32_e32 v7, v4
	v_min_u32_e32 v7, 32, v7
	v_lshrrev_b16_sdwa v6, v60, v96 dst_sel:DWORD dst_unused:UNUSED_PAD src0_sel:DWORD src1_sel:WORD_1
	v_subrev_u32_e32 v8, 28, v7
	v_and_b32_e32 v6, 15, v6
	v_lshlrev_b32_e32 v8, v8, v4
	v_sub_u32_e32 v7, 29, v7
	v_and_b32_e32 v8, 7, v8
	v_cmp_eq_u16_e32 vcc, 0, v6
	v_lshrrev_b16_sdwa v5, v44, v96 dst_sel:DWORD dst_unused:UNUSED_PAD src0_sel:DWORD src1_sel:WORD_1
	v_cndmask_b32_e32 v4, v4, v8, vcc
	v_cndmask_b32_e32 v6, v6, v7, vcc
	v_lshlrev_b32_e32 v4, 20, v4
	v_lshlrev_b32_e32 v5, 31, v5
	v_lshl_add_u32 v6, v6, 23, v126
	v_or3_b32 v92, v5, v6, v4
.LBB4_778:                              ;   in Loop: Header=BB4_62 Depth=1
	s_or_b64 exec, exec, s[6:7]
	v_cmp_gt_i16_sdwa s[6:7], v97, s24 src0_sel:BYTE_0 src1_sel:DWORD
	s_mov_b64 s[4:5], 0
                                        ; implicit-def: $sgpr10
	s_and_saveexec_b64 s[8:9], s[6:7]
	s_xor_b64 s[6:7], exec, s[8:9]
	s_cbranch_execnz .LBB4_1801
; %bb.779:                              ;   in Loop: Header=BB4_62 Depth=1
	s_or_saveexec_b64 s[6:7], s[6:7]
	v_mov_b32_e32 v96, s10
	s_xor_b64 exec, exec, s[6:7]
	s_cbranch_execnz .LBB4_1804
.LBB4_780:                              ;   in Loop: Header=BB4_62 Depth=1
	s_or_b64 exec, exec, s[6:7]
	s_and_saveexec_b64 s[6:7], s[4:5]
	s_cbranch_execz .LBB4_782
.LBB4_781:                              ;   in Loop: Header=BB4_62 Depth=1
	v_and_b32_e32 v4, 7, v97
	v_ffbh_u32_e32 v7, v4
	v_min_u32_e32 v7, 32, v7
	v_lshrrev_b16_e32 v6, 3, v97
	v_subrev_u32_e32 v8, 28, v7
	v_and_b32_e32 v6, 15, v6
	v_lshlrev_b32_e32 v8, v8, v4
	v_sub_u32_e32 v7, 29, v7
	v_and_b32_e32 v8, 7, v8
	v_cmp_eq_u16_e32 vcc, 0, v6
	v_lshrrev_b16_e32 v5, 7, v97
	v_cndmask_b32_e32 v4, v4, v8, vcc
	v_cndmask_b32_e32 v6, v6, v7, vcc
	v_lshlrev_b32_e32 v4, 20, v4
	v_lshlrev_b32_e32 v5, 31, v5
	v_lshl_add_u32 v6, v6, 23, v126
	v_or3_b32 v96, v5, v6, v4
.LBB4_782:                              ;   in Loop: Header=BB4_62 Depth=1
	s_or_b64 exec, exec, s[6:7]
	v_cmp_gt_i16_sdwa s[6:7], v97, s24 src0_sel:BYTE_1 src1_sel:DWORD
	s_mov_b64 s[4:5], 0
                                        ; implicit-def: $sgpr10
	s_and_saveexec_b64 s[8:9], s[6:7]
	s_xor_b64 s[6:7], exec, s[8:9]
	s_cbranch_execnz .LBB4_1805
; %bb.783:                              ;   in Loop: Header=BB4_62 Depth=1
	s_or_saveexec_b64 s[6:7], s[6:7]
	v_mov_b32_e32 v93, s10
	s_xor_b64 exec, exec, s[6:7]
	s_cbranch_execnz .LBB4_1808
.LBB4_784:                              ;   in Loop: Header=BB4_62 Depth=1
	s_or_b64 exec, exec, s[6:7]
	s_and_saveexec_b64 s[6:7], s[4:5]
	s_cbranch_execz .LBB4_786
.LBB4_785:                              ;   in Loop: Header=BB4_62 Depth=1
	v_and_b32_sdwa v4, v97, v116 dst_sel:DWORD dst_unused:UNUSED_PAD src0_sel:BYTE_1 src1_sel:DWORD
	v_ffbh_u32_e32 v7, v4
	v_min_u32_e32 v7, 32, v7
	v_lshrrev_b16_e32 v6, 11, v97
	v_subrev_u32_e32 v8, 28, v7
	v_and_b32_e32 v6, 15, v6
	v_lshlrev_b32_e32 v8, v8, v4
	v_sub_u32_e32 v7, 29, v7
	v_and_b32_e32 v8, 7, v8
	v_cmp_eq_u16_e32 vcc, 0, v6
	v_lshrrev_b16_e32 v5, 15, v97
	v_cndmask_b32_e32 v4, v4, v8, vcc
	v_cndmask_b32_e32 v6, v6, v7, vcc
	v_lshlrev_b32_e32 v4, 20, v4
	v_lshlrev_b32_e32 v5, 31, v5
	v_lshl_add_u32 v6, v6, 23, v126
	v_or3_b32 v93, v5, v6, v4
.LBB4_786:                              ;   in Loop: Header=BB4_62 Depth=1
	s_or_b64 exec, exec, s[6:7]
	v_and_b32_sdwa v4, v97, s23 dst_sel:DWORD dst_unused:UNUSED_PAD src0_sel:WORD_1 src1_sel:DWORD
	v_cmp_lt_i16_e32 vcc, s24, v4
	s_mov_b64 s[4:5], 0
                                        ; implicit-def: $sgpr10
	s_and_saveexec_b64 s[6:7], vcc
	s_xor_b64 s[6:7], exec, s[6:7]
	s_cbranch_execnz .LBB4_1809
; %bb.787:                              ;   in Loop: Header=BB4_62 Depth=1
	s_or_saveexec_b64 s[6:7], s[6:7]
	v_mov_b32_e32 v94, s10
	s_xor_b64 exec, exec, s[6:7]
	s_cbranch_execnz .LBB4_1812
.LBB4_788:                              ;   in Loop: Header=BB4_62 Depth=1
	s_or_b64 exec, exec, s[6:7]
	s_and_saveexec_b64 s[6:7], s[4:5]
	s_cbranch_execz .LBB4_790
.LBB4_789:                              ;   in Loop: Header=BB4_62 Depth=1
	v_and_b32_sdwa v4, v97, v116 dst_sel:DWORD dst_unused:UNUSED_PAD src0_sel:WORD_1 src1_sel:DWORD
	v_ffbh_u32_e32 v7, v4
	v_min_u32_e32 v7, 32, v7
	v_lshrrev_b16_sdwa v6, v117, v97 dst_sel:DWORD dst_unused:UNUSED_PAD src0_sel:DWORD src1_sel:WORD_1
	v_subrev_u32_e32 v8, 28, v7
	v_and_b32_e32 v6, 15, v6
	v_lshlrev_b32_e32 v8, v8, v4
	v_sub_u32_e32 v7, 29, v7
	v_and_b32_e32 v8, 7, v8
	v_cmp_eq_u16_e32 vcc, 0, v6
	v_lshrrev_b16_sdwa v5, v116, v97 dst_sel:DWORD dst_unused:UNUSED_PAD src0_sel:DWORD src1_sel:WORD_1
	v_cndmask_b32_e32 v4, v4, v8, vcc
	v_cndmask_b32_e32 v6, v6, v7, vcc
	v_lshlrev_b32_e32 v4, 20, v4
	v_lshlrev_b32_e32 v5, 31, v5
	v_lshl_add_u32 v6, v6, 23, v126
	v_or3_b32 v94, v5, v6, v4
.LBB4_790:                              ;   in Loop: Header=BB4_62 Depth=1
	s_or_b64 exec, exec, s[6:7]
	v_lshrrev_b16_sdwa v4, v124, v97 dst_sel:DWORD dst_unused:UNUSED_PAD src0_sel:DWORD src1_sel:WORD_1
	v_cmp_lt_i16_e32 vcc, s24, v4
	s_mov_b64 s[4:5], 0
                                        ; implicit-def: $sgpr10
	s_and_saveexec_b64 s[6:7], vcc
	s_xor_b64 s[6:7], exec, s[6:7]
	s_cbranch_execnz .LBB4_1813
; %bb.791:                              ;   in Loop: Header=BB4_62 Depth=1
	s_or_saveexec_b64 s[6:7], s[6:7]
	v_mov_b32_e32 v95, s10
	s_xor_b64 exec, exec, s[6:7]
	s_cbranch_execnz .LBB4_1816
.LBB4_792:                              ;   in Loop: Header=BB4_62 Depth=1
	s_or_b64 exec, exec, s[6:7]
	s_and_saveexec_b64 s[6:7], s[4:5]
	s_cbranch_execz .LBB4_794
.LBB4_793:                              ;   in Loop: Header=BB4_62 Depth=1
	v_and_b32_e32 v4, 7, v4
	v_ffbh_u32_e32 v7, v4
	v_min_u32_e32 v7, 32, v7
	v_lshrrev_b16_sdwa v6, v60, v97 dst_sel:DWORD dst_unused:UNUSED_PAD src0_sel:DWORD src1_sel:WORD_1
	v_subrev_u32_e32 v8, 28, v7
	v_and_b32_e32 v6, 15, v6
	v_lshlrev_b32_e32 v8, v8, v4
	v_sub_u32_e32 v7, 29, v7
	v_and_b32_e32 v8, 7, v8
	v_cmp_eq_u16_e32 vcc, 0, v6
	v_lshrrev_b16_sdwa v5, v44, v97 dst_sel:DWORD dst_unused:UNUSED_PAD src0_sel:DWORD src1_sel:WORD_1
	v_cndmask_b32_e32 v4, v4, v8, vcc
	v_cndmask_b32_e32 v6, v6, v7, vcc
	v_lshlrev_b32_e32 v4, 20, v4
	v_lshlrev_b32_e32 v5, 31, v5
	v_lshl_add_u32 v6, v6, 23, v126
	v_or3_b32 v95, v5, v6, v4
.LBB4_794:                              ;   in Loop: Header=BB4_62 Depth=1
	s_or_b64 exec, exec, s[6:7]
	v_cmp_gt_i16_sdwa s[6:7], v98, s24 src0_sel:BYTE_0 src1_sel:DWORD
	s_mov_b64 s[4:5], 0
                                        ; implicit-def: $sgpr10
	s_and_saveexec_b64 s[8:9], s[6:7]
	s_xor_b64 s[6:7], exec, s[8:9]
	s_cbranch_execnz .LBB4_1817
; %bb.795:                              ;   in Loop: Header=BB4_62 Depth=1
	s_or_saveexec_b64 s[6:7], s[6:7]
	v_mov_b32_e32 v97, s10
	s_xor_b64 exec, exec, s[6:7]
	s_cbranch_execnz .LBB4_1820
.LBB4_796:                              ;   in Loop: Header=BB4_62 Depth=1
	s_or_b64 exec, exec, s[6:7]
	s_and_saveexec_b64 s[6:7], s[4:5]
	s_cbranch_execz .LBB4_798
.LBB4_797:                              ;   in Loop: Header=BB4_62 Depth=1
	v_and_b32_e32 v4, 7, v98
	v_ffbh_u32_e32 v7, v4
	v_min_u32_e32 v7, 32, v7
	v_lshrrev_b16_e32 v6, 3, v98
	v_subrev_u32_e32 v8, 28, v7
	v_and_b32_e32 v6, 15, v6
	v_lshlrev_b32_e32 v8, v8, v4
	v_sub_u32_e32 v7, 29, v7
	v_and_b32_e32 v8, 7, v8
	v_cmp_eq_u16_e32 vcc, 0, v6
	v_lshrrev_b16_e32 v5, 7, v98
	v_cndmask_b32_e32 v4, v4, v8, vcc
	v_cndmask_b32_e32 v6, v6, v7, vcc
	v_lshlrev_b32_e32 v4, 20, v4
	v_lshlrev_b32_e32 v5, 31, v5
	v_lshl_add_u32 v6, v6, 23, v126
	v_or3_b32 v97, v5, v6, v4
.LBB4_798:                              ;   in Loop: Header=BB4_62 Depth=1
	s_or_b64 exec, exec, s[6:7]
	v_cmp_gt_i16_sdwa s[6:7], v98, s24 src0_sel:BYTE_1 src1_sel:DWORD
	s_mov_b64 s[4:5], 0
                                        ; implicit-def: $sgpr10
	s_and_saveexec_b64 s[8:9], s[6:7]
	s_xor_b64 s[6:7], exec, s[8:9]
	s_cbranch_execnz .LBB4_1821
; %bb.799:                              ;   in Loop: Header=BB4_62 Depth=1
	s_or_saveexec_b64 s[6:7], s[6:7]
	v_mov_b32_e32 v104, s10
	s_xor_b64 exec, exec, s[6:7]
	s_cbranch_execnz .LBB4_1824
.LBB4_800:                              ;   in Loop: Header=BB4_62 Depth=1
	s_or_b64 exec, exec, s[6:7]
	s_and_saveexec_b64 s[6:7], s[4:5]
	s_cbranch_execz .LBB4_802
.LBB4_801:                              ;   in Loop: Header=BB4_62 Depth=1
	v_and_b32_sdwa v4, v98, v116 dst_sel:DWORD dst_unused:UNUSED_PAD src0_sel:BYTE_1 src1_sel:DWORD
	v_ffbh_u32_e32 v7, v4
	v_min_u32_e32 v7, 32, v7
	v_lshrrev_b16_e32 v6, 11, v98
	v_subrev_u32_e32 v8, 28, v7
	v_and_b32_e32 v6, 15, v6
	v_lshlrev_b32_e32 v8, v8, v4
	v_sub_u32_e32 v7, 29, v7
	v_and_b32_e32 v8, 7, v8
	v_cmp_eq_u16_e32 vcc, 0, v6
	v_lshrrev_b16_e32 v5, 15, v98
	v_cndmask_b32_e32 v4, v4, v8, vcc
	v_cndmask_b32_e32 v6, v6, v7, vcc
	v_lshlrev_b32_e32 v4, 20, v4
	v_lshlrev_b32_e32 v5, 31, v5
	v_lshl_add_u32 v6, v6, 23, v126
	v_or3_b32 v104, v5, v6, v4
.LBB4_802:                              ;   in Loop: Header=BB4_62 Depth=1
	s_or_b64 exec, exec, s[6:7]
	v_and_b32_sdwa v4, v98, s23 dst_sel:DWORD dst_unused:UNUSED_PAD src0_sel:WORD_1 src1_sel:DWORD
	v_cmp_lt_i16_e32 vcc, s24, v4
	s_mov_b64 s[4:5], 0
                                        ; implicit-def: $sgpr10
	s_and_saveexec_b64 s[6:7], vcc
	s_xor_b64 s[6:7], exec, s[6:7]
	s_cbranch_execnz .LBB4_1825
; %bb.803:                              ;   in Loop: Header=BB4_62 Depth=1
	s_or_saveexec_b64 s[6:7], s[6:7]
	v_mov_b32_e32 v105, s10
	s_xor_b64 exec, exec, s[6:7]
	s_cbranch_execnz .LBB4_1828
.LBB4_804:                              ;   in Loop: Header=BB4_62 Depth=1
	s_or_b64 exec, exec, s[6:7]
	s_and_saveexec_b64 s[6:7], s[4:5]
	s_cbranch_execz .LBB4_806
.LBB4_805:                              ;   in Loop: Header=BB4_62 Depth=1
	v_and_b32_sdwa v4, v98, v116 dst_sel:DWORD dst_unused:UNUSED_PAD src0_sel:WORD_1 src1_sel:DWORD
	v_ffbh_u32_e32 v7, v4
	v_min_u32_e32 v7, 32, v7
	v_lshrrev_b16_sdwa v6, v117, v98 dst_sel:DWORD dst_unused:UNUSED_PAD src0_sel:DWORD src1_sel:WORD_1
	v_subrev_u32_e32 v8, 28, v7
	v_and_b32_e32 v6, 15, v6
	v_lshlrev_b32_e32 v8, v8, v4
	v_sub_u32_e32 v7, 29, v7
	v_and_b32_e32 v8, 7, v8
	v_cmp_eq_u16_e32 vcc, 0, v6
	v_lshrrev_b16_sdwa v5, v116, v98 dst_sel:DWORD dst_unused:UNUSED_PAD src0_sel:DWORD src1_sel:WORD_1
	v_cndmask_b32_e32 v4, v4, v8, vcc
	v_cndmask_b32_e32 v6, v6, v7, vcc
	v_lshlrev_b32_e32 v4, 20, v4
	v_lshlrev_b32_e32 v5, 31, v5
	v_lshl_add_u32 v6, v6, 23, v126
	v_or3_b32 v105, v5, v6, v4
.LBB4_806:                              ;   in Loop: Header=BB4_62 Depth=1
	s_or_b64 exec, exec, s[6:7]
	v_lshrrev_b16_sdwa v5, v124, v98 dst_sel:DWORD dst_unused:UNUSED_PAD src0_sel:DWORD src1_sel:WORD_1
	v_cmp_lt_i16_e32 vcc, s24, v5
	s_mov_b64 s[4:5], 0
                                        ; implicit-def: $sgpr10
	s_and_saveexec_b64 s[6:7], vcc
	s_xor_b64 s[6:7], exec, s[6:7]
	s_cbranch_execnz .LBB4_1829
; %bb.807:                              ;   in Loop: Header=BB4_62 Depth=1
	s_or_saveexec_b64 s[6:7], s[6:7]
	v_mov_b32_e32 v4, s10
	s_xor_b64 exec, exec, s[6:7]
	s_cbranch_execnz .LBB4_1832
.LBB4_808:                              ;   in Loop: Header=BB4_62 Depth=1
	s_or_b64 exec, exec, s[6:7]
	s_and_saveexec_b64 s[6:7], s[4:5]
	s_cbranch_execz .LBB4_810
.LBB4_809:                              ;   in Loop: Header=BB4_62 Depth=1
	v_and_b32_e32 v4, 7, v5
	v_ffbh_u32_e32 v7, v4
	v_min_u32_e32 v7, 32, v7
	v_lshrrev_b16_sdwa v6, v60, v98 dst_sel:DWORD dst_unused:UNUSED_PAD src0_sel:DWORD src1_sel:WORD_1
	v_subrev_u32_e32 v8, 28, v7
	v_and_b32_e32 v6, 15, v6
	v_lshlrev_b32_e32 v8, v8, v4
	v_sub_u32_e32 v7, 29, v7
	v_and_b32_e32 v8, 7, v8
	v_cmp_eq_u16_e32 vcc, 0, v6
	v_lshrrev_b16_sdwa v5, v44, v98 dst_sel:DWORD dst_unused:UNUSED_PAD src0_sel:DWORD src1_sel:WORD_1
	v_cndmask_b32_e32 v4, v4, v8, vcc
	v_cndmask_b32_e32 v6, v6, v7, vcc
	v_lshlrev_b32_e32 v4, 20, v4
	v_lshlrev_b32_e32 v5, 31, v5
	v_lshl_add_u32 v6, v6, 23, v126
	v_or3_b32 v4, v5, v6, v4
.LBB4_810:                              ;   in Loop: Header=BB4_62 Depth=1
	s_or_b64 exec, exec, s[6:7]
	v_cmp_gt_i16_sdwa s[6:7], v99, s24 src0_sel:BYTE_0 src1_sel:DWORD
	s_mov_b64 s[4:5], 0
                                        ; implicit-def: $sgpr10
	s_and_saveexec_b64 s[8:9], s[6:7]
	s_xor_b64 s[6:7], exec, s[8:9]
	s_cbranch_execnz .LBB4_1833
; %bb.811:                              ;   in Loop: Header=BB4_62 Depth=1
	s_or_saveexec_b64 s[6:7], s[6:7]
	v_mov_b32_e32 v5, s10
	s_xor_b64 exec, exec, s[6:7]
	s_cbranch_execnz .LBB4_1836
.LBB4_812:                              ;   in Loop: Header=BB4_62 Depth=1
	s_or_b64 exec, exec, s[6:7]
	s_and_saveexec_b64 s[6:7], s[4:5]
	s_cbranch_execz .LBB4_814
.LBB4_813:                              ;   in Loop: Header=BB4_62 Depth=1
	v_and_b32_e32 v5, 7, v99
	v_ffbh_u32_e32 v8, v5
	v_min_u32_e32 v8, 32, v8
	v_lshrrev_b16_e32 v7, 3, v99
	v_subrev_u32_e32 v9, 28, v8
	v_and_b32_e32 v7, 15, v7
	v_lshlrev_b32_e32 v9, v9, v5
	v_sub_u32_e32 v8, 29, v8
	v_and_b32_e32 v9, 7, v9
	v_cmp_eq_u16_e32 vcc, 0, v7
	v_lshrrev_b16_e32 v6, 7, v99
	v_cndmask_b32_e32 v5, v5, v9, vcc
	v_cndmask_b32_e32 v7, v7, v8, vcc
	v_lshlrev_b32_e32 v5, 20, v5
	v_lshlrev_b32_e32 v6, 31, v6
	v_lshl_add_u32 v7, v7, 23, v126
	v_or3_b32 v5, v6, v7, v5
.LBB4_814:                              ;   in Loop: Header=BB4_62 Depth=1
	s_or_b64 exec, exec, s[6:7]
	v_cmp_gt_i16_sdwa s[6:7], v99, s24 src0_sel:BYTE_1 src1_sel:DWORD
	s_mov_b64 s[4:5], 0
                                        ; implicit-def: $sgpr10
	s_and_saveexec_b64 s[8:9], s[6:7]
	s_xor_b64 s[6:7], exec, s[8:9]
	s_cbranch_execnz .LBB4_1837
; %bb.815:                              ;   in Loop: Header=BB4_62 Depth=1
	s_or_saveexec_b64 s[6:7], s[6:7]
	v_mov_b32_e32 v6, s10
	s_xor_b64 exec, exec, s[6:7]
	s_cbranch_execnz .LBB4_1840
.LBB4_816:                              ;   in Loop: Header=BB4_62 Depth=1
	s_or_b64 exec, exec, s[6:7]
	s_and_saveexec_b64 s[6:7], s[4:5]
	s_cbranch_execz .LBB4_818
.LBB4_817:                              ;   in Loop: Header=BB4_62 Depth=1
	v_and_b32_sdwa v6, v99, v116 dst_sel:DWORD dst_unused:UNUSED_PAD src0_sel:BYTE_1 src1_sel:DWORD
	v_ffbh_u32_e32 v9, v6
	v_min_u32_e32 v9, 32, v9
	v_lshrrev_b16_e32 v8, 11, v99
	v_subrev_u32_e32 v10, 28, v9
	v_and_b32_e32 v8, 15, v8
	v_lshlrev_b32_e32 v10, v10, v6
	v_sub_u32_e32 v9, 29, v9
	v_and_b32_e32 v10, 7, v10
	v_cmp_eq_u16_e32 vcc, 0, v8
	v_lshrrev_b16_e32 v7, 15, v99
	v_cndmask_b32_e32 v6, v6, v10, vcc
	v_cndmask_b32_e32 v8, v8, v9, vcc
	v_lshlrev_b32_e32 v6, 20, v6
	v_lshlrev_b32_e32 v7, 31, v7
	v_lshl_add_u32 v8, v8, 23, v126
	v_or3_b32 v6, v7, v8, v6
.LBB4_818:                              ;   in Loop: Header=BB4_62 Depth=1
	s_or_b64 exec, exec, s[6:7]
	v_and_b32_sdwa v8, v99, s23 dst_sel:DWORD dst_unused:UNUSED_PAD src0_sel:WORD_1 src1_sel:DWORD
	v_cmp_lt_i16_e32 vcc, s24, v8
	s_mov_b64 s[4:5], 0
                                        ; implicit-def: $sgpr10
	s_and_saveexec_b64 s[6:7], vcc
	s_xor_b64 s[6:7], exec, s[6:7]
	s_cbranch_execnz .LBB4_1841
; %bb.819:                              ;   in Loop: Header=BB4_62 Depth=1
	s_or_saveexec_b64 s[6:7], s[6:7]
	v_mov_b32_e32 v7, s10
	s_xor_b64 exec, exec, s[6:7]
	s_cbranch_execnz .LBB4_1844
.LBB4_820:                              ;   in Loop: Header=BB4_62 Depth=1
	s_or_b64 exec, exec, s[6:7]
	s_and_saveexec_b64 s[6:7], s[4:5]
	s_cbranch_execz .LBB4_822
.LBB4_821:                              ;   in Loop: Header=BB4_62 Depth=1
	v_and_b32_sdwa v7, v99, v116 dst_sel:DWORD dst_unused:UNUSED_PAD src0_sel:WORD_1 src1_sel:DWORD
	v_ffbh_u32_e32 v10, v7
	v_min_u32_e32 v10, 32, v10
	v_lshrrev_b16_sdwa v9, v117, v99 dst_sel:DWORD dst_unused:UNUSED_PAD src0_sel:DWORD src1_sel:WORD_1
	v_subrev_u32_e32 v11, 28, v10
	v_and_b32_e32 v9, 15, v9
	v_lshlrev_b32_e32 v11, v11, v7
	v_sub_u32_e32 v10, 29, v10
	v_and_b32_e32 v11, 7, v11
	v_cmp_eq_u16_e32 vcc, 0, v9
	v_lshrrev_b16_sdwa v8, v116, v99 dst_sel:DWORD dst_unused:UNUSED_PAD src0_sel:DWORD src1_sel:WORD_1
	v_cndmask_b32_e32 v7, v7, v11, vcc
	v_cndmask_b32_e32 v9, v9, v10, vcc
	v_lshlrev_b32_e32 v7, 20, v7
	v_lshlrev_b32_e32 v8, 31, v8
	v_lshl_add_u32 v9, v9, 23, v126
	v_or3_b32 v7, v8, v9, v7
.LBB4_822:                              ;   in Loop: Header=BB4_62 Depth=1
	s_or_b64 exec, exec, s[6:7]
	v_lshrrev_b16_sdwa v98, v124, v99 dst_sel:DWORD dst_unused:UNUSED_PAD src0_sel:DWORD src1_sel:WORD_1
	v_cmp_lt_i16_e32 vcc, s24, v98
	s_mov_b64 s[4:5], 0
                                        ; implicit-def: $sgpr10
	s_and_saveexec_b64 s[6:7], vcc
	s_xor_b64 s[6:7], exec, s[6:7]
	s_cbranch_execnz .LBB4_1845
; %bb.823:                              ;   in Loop: Header=BB4_62 Depth=1
	s_or_saveexec_b64 s[6:7], s[6:7]
	v_mov_b32_e32 v106, s10
	s_xor_b64 exec, exec, s[6:7]
	s_cbranch_execnz .LBB4_1848
.LBB4_824:                              ;   in Loop: Header=BB4_62 Depth=1
	s_or_b64 exec, exec, s[6:7]
	s_and_saveexec_b64 s[6:7], s[4:5]
	s_cbranch_execz .LBB4_826
.LBB4_825:                              ;   in Loop: Header=BB4_62 Depth=1
	v_and_b32_e32 v8, 7, v98
	v_ffbh_u32_e32 v11, v8
	v_min_u32_e32 v11, 32, v11
	v_lshrrev_b16_sdwa v10, v60, v99 dst_sel:DWORD dst_unused:UNUSED_PAD src0_sel:DWORD src1_sel:WORD_1
	v_subrev_u32_e32 v98, 28, v11
	v_and_b32_e32 v10, 15, v10
	v_lshlrev_b32_e32 v98, v98, v8
	v_sub_u32_e32 v11, 29, v11
	v_and_b32_e32 v98, 7, v98
	v_cmp_eq_u16_e32 vcc, 0, v10
	v_lshrrev_b16_sdwa v9, v44, v99 dst_sel:DWORD dst_unused:UNUSED_PAD src0_sel:DWORD src1_sel:WORD_1
	v_cndmask_b32_e32 v8, v8, v98, vcc
	v_cndmask_b32_e32 v10, v10, v11, vcc
	v_lshlrev_b32_e32 v8, 20, v8
	v_lshlrev_b32_e32 v9, 31, v9
	v_lshl_add_u32 v10, v10, 23, v126
	v_or3_b32 v106, v9, v10, v8
.LBB4_826:                              ;   in Loop: Header=BB4_62 Depth=1
	s_or_b64 exec, exec, s[6:7]
	v_cvt_pkrtz_f16_f32 v5, v5, v6
	v_cvt_pkrtz_f16_f32 v6, v91, v92
	;; [unrolled: 1-line block ×8, first 2 shown]
	buffer_store_dword v6, off, s[0:3], s33 offset:68
	buffer_store_dword v0, off, s[0:3], s33 offset:64
	;; [unrolled: 1-line block ×8, first 2 shown]
	v_add_u32_e32 v4, 48, v77
	v_ashrrev_i32_e32 v0, 31, v4
	v_lshrrev_b32_e32 v0, 28, v0
	v_add_u32_e32 v5, v4, v0
	v_ashrrev_i32_e32 v0, 4, v5
	v_and_b32_e32 v5, -16, v5
	v_sub_u32_e32 v114, v4, v5
	v_add_u32_e32 v4, v0, v88
	v_xor_b32_e32 v4, v4, v90
	v_sub_u32_e32 v4, v4, v74
	v_lshlrev_b32_e32 v4, 4, v4
	v_add3_u32 v4, v114, v89, v4
	v_ashrrev_i32_e32 v5, 31, v4
	v_add_co_u32_e32 v4, vcc, v72, v4
	v_addc_co_u32_e32 v5, vcc, v73, v5, vcc
	flat_load_dwordx4 v[96:99], v[4:5]
	s_mov_b64 s[4:5], 0
                                        ; implicit-def: $sgpr10
	s_waitcnt vmcnt(0) lgkmcnt(0)
	v_cmp_gt_i16_sdwa s[6:7], v96, s24 src0_sel:BYTE_0 src1_sel:DWORD
	s_and_saveexec_b64 s[8:9], s[6:7]
	s_xor_b64 s[6:7], exec, s[8:9]
	s_cbranch_execnz .LBB4_1849
; %bb.827:                              ;   in Loop: Header=BB4_62 Depth=1
	s_or_saveexec_b64 s[6:7], s[6:7]
	v_mov_b32_e32 v77, s10
	s_xor_b64 exec, exec, s[6:7]
	s_cbranch_execnz .LBB4_1852
.LBB4_828:                              ;   in Loop: Header=BB4_62 Depth=1
	s_or_b64 exec, exec, s[6:7]
	s_and_saveexec_b64 s[6:7], s[4:5]
	s_cbranch_execz .LBB4_830
.LBB4_829:                              ;   in Loop: Header=BB4_62 Depth=1
	v_and_b32_e32 v4, 7, v96
	v_ffbh_u32_e32 v7, v4
	v_min_u32_e32 v7, 32, v7
	v_lshrrev_b16_e32 v6, 3, v96
	v_subrev_u32_e32 v8, 28, v7
	v_and_b32_e32 v6, 15, v6
	v_lshlrev_b32_e32 v8, v8, v4
	v_sub_u32_e32 v7, 29, v7
	v_and_b32_e32 v8, 7, v8
	v_cmp_eq_u16_e32 vcc, 0, v6
	v_lshrrev_b16_e32 v5, 7, v96
	v_cndmask_b32_e32 v4, v4, v8, vcc
	v_cndmask_b32_e32 v6, v6, v7, vcc
	v_lshlrev_b32_e32 v4, 20, v4
	v_lshlrev_b32_e32 v5, 31, v5
	v_lshl_add_u32 v6, v6, 23, v126
	v_or3_b32 v77, v5, v6, v4
.LBB4_830:                              ;   in Loop: Header=BB4_62 Depth=1
	s_or_b64 exec, exec, s[6:7]
	v_cmp_gt_i16_sdwa s[6:7], v96, s24 src0_sel:BYTE_1 src1_sel:DWORD
	s_mov_b64 s[4:5], 0
                                        ; implicit-def: $sgpr10
	s_and_saveexec_b64 s[8:9], s[6:7]
	s_xor_b64 s[6:7], exec, s[8:9]
	s_cbranch_execnz .LBB4_1853
; %bb.831:                              ;   in Loop: Header=BB4_62 Depth=1
	s_or_saveexec_b64 s[6:7], s[6:7]
	v_mov_b32_e32 v88, s10
	s_xor_b64 exec, exec, s[6:7]
	s_cbranch_execnz .LBB4_1856
.LBB4_832:                              ;   in Loop: Header=BB4_62 Depth=1
	s_or_b64 exec, exec, s[6:7]
	s_and_saveexec_b64 s[6:7], s[4:5]
	s_cbranch_execz .LBB4_834
.LBB4_833:                              ;   in Loop: Header=BB4_62 Depth=1
	v_and_b32_sdwa v4, v96, v116 dst_sel:DWORD dst_unused:UNUSED_PAD src0_sel:BYTE_1 src1_sel:DWORD
	v_ffbh_u32_e32 v7, v4
	v_min_u32_e32 v7, 32, v7
	v_lshrrev_b16_e32 v6, 11, v96
	v_subrev_u32_e32 v8, 28, v7
	v_and_b32_e32 v6, 15, v6
	v_lshlrev_b32_e32 v8, v8, v4
	v_sub_u32_e32 v7, 29, v7
	v_and_b32_e32 v8, 7, v8
	v_cmp_eq_u16_e32 vcc, 0, v6
	v_lshrrev_b16_e32 v5, 15, v96
	v_cndmask_b32_e32 v4, v4, v8, vcc
	v_cndmask_b32_e32 v6, v6, v7, vcc
	v_lshlrev_b32_e32 v4, 20, v4
	v_lshlrev_b32_e32 v5, 31, v5
	v_lshl_add_u32 v6, v6, 23, v126
	v_or3_b32 v88, v5, v6, v4
.LBB4_834:                              ;   in Loop: Header=BB4_62 Depth=1
	s_or_b64 exec, exec, s[6:7]
	v_and_b32_sdwa v4, v96, s23 dst_sel:DWORD dst_unused:UNUSED_PAD src0_sel:WORD_1 src1_sel:DWORD
	v_cmp_lt_i16_e32 vcc, s24, v4
	s_mov_b64 s[4:5], 0
                                        ; implicit-def: $sgpr10
	s_and_saveexec_b64 s[6:7], vcc
	s_xor_b64 s[6:7], exec, s[6:7]
	s_cbranch_execnz .LBB4_1857
; %bb.835:                              ;   in Loop: Header=BB4_62 Depth=1
	s_or_saveexec_b64 s[6:7], s[6:7]
	v_mov_b32_e32 v89, s10
	s_xor_b64 exec, exec, s[6:7]
	s_cbranch_execnz .LBB4_1860
.LBB4_836:                              ;   in Loop: Header=BB4_62 Depth=1
	s_or_b64 exec, exec, s[6:7]
	s_and_saveexec_b64 s[6:7], s[4:5]
	s_cbranch_execz .LBB4_838
.LBB4_837:                              ;   in Loop: Header=BB4_62 Depth=1
	v_and_b32_sdwa v4, v96, v116 dst_sel:DWORD dst_unused:UNUSED_PAD src0_sel:WORD_1 src1_sel:DWORD
	v_ffbh_u32_e32 v7, v4
	v_min_u32_e32 v7, 32, v7
	v_lshrrev_b16_sdwa v6, v117, v96 dst_sel:DWORD dst_unused:UNUSED_PAD src0_sel:DWORD src1_sel:WORD_1
	v_subrev_u32_e32 v8, 28, v7
	v_and_b32_e32 v6, 15, v6
	v_lshlrev_b32_e32 v8, v8, v4
	v_sub_u32_e32 v7, 29, v7
	v_and_b32_e32 v8, 7, v8
	v_cmp_eq_u16_e32 vcc, 0, v6
	v_lshrrev_b16_sdwa v5, v116, v96 dst_sel:DWORD dst_unused:UNUSED_PAD src0_sel:DWORD src1_sel:WORD_1
	v_cndmask_b32_e32 v4, v4, v8, vcc
	v_cndmask_b32_e32 v6, v6, v7, vcc
	v_lshlrev_b32_e32 v4, 20, v4
	v_lshlrev_b32_e32 v5, 31, v5
	v_lshl_add_u32 v6, v6, 23, v126
	v_or3_b32 v89, v5, v6, v4
.LBB4_838:                              ;   in Loop: Header=BB4_62 Depth=1
	s_or_b64 exec, exec, s[6:7]
	v_lshrrev_b16_sdwa v4, v124, v96 dst_sel:DWORD dst_unused:UNUSED_PAD src0_sel:DWORD src1_sel:WORD_1
	v_cmp_lt_i16_e32 vcc, s24, v4
	s_mov_b64 s[4:5], 0
                                        ; implicit-def: $sgpr10
	s_and_saveexec_b64 s[6:7], vcc
	s_xor_b64 s[6:7], exec, s[6:7]
	s_cbranch_execnz .LBB4_1861
; %bb.839:                              ;   in Loop: Header=BB4_62 Depth=1
	s_or_saveexec_b64 s[6:7], s[6:7]
	v_mov_b32_e32 v90, s10
	s_xor_b64 exec, exec, s[6:7]
	s_cbranch_execnz .LBB4_1864
.LBB4_840:                              ;   in Loop: Header=BB4_62 Depth=1
	s_or_b64 exec, exec, s[6:7]
	s_and_saveexec_b64 s[6:7], s[4:5]
	s_cbranch_execz .LBB4_842
.LBB4_841:                              ;   in Loop: Header=BB4_62 Depth=1
	v_and_b32_e32 v4, 7, v4
	v_ffbh_u32_e32 v7, v4
	v_min_u32_e32 v7, 32, v7
	v_lshrrev_b16_sdwa v6, v60, v96 dst_sel:DWORD dst_unused:UNUSED_PAD src0_sel:DWORD src1_sel:WORD_1
	v_subrev_u32_e32 v8, 28, v7
	v_and_b32_e32 v6, 15, v6
	v_lshlrev_b32_e32 v8, v8, v4
	v_sub_u32_e32 v7, 29, v7
	v_and_b32_e32 v8, 7, v8
	v_cmp_eq_u16_e32 vcc, 0, v6
	v_lshrrev_b16_sdwa v5, v44, v96 dst_sel:DWORD dst_unused:UNUSED_PAD src0_sel:DWORD src1_sel:WORD_1
	v_cndmask_b32_e32 v4, v4, v8, vcc
	v_cndmask_b32_e32 v6, v6, v7, vcc
	v_lshlrev_b32_e32 v4, 20, v4
	v_lshlrev_b32_e32 v5, 31, v5
	v_lshl_add_u32 v6, v6, 23, v126
	v_or3_b32 v90, v5, v6, v4
.LBB4_842:                              ;   in Loop: Header=BB4_62 Depth=1
	s_or_b64 exec, exec, s[6:7]
	v_cmp_gt_i16_sdwa s[6:7], v97, s24 src0_sel:BYTE_0 src1_sel:DWORD
	s_mov_b64 s[4:5], 0
                                        ; implicit-def: $sgpr10
	s_and_saveexec_b64 s[8:9], s[6:7]
	s_xor_b64 s[6:7], exec, s[8:9]
	s_cbranch_execnz .LBB4_1865
; %bb.843:                              ;   in Loop: Header=BB4_62 Depth=1
	s_or_saveexec_b64 s[6:7], s[6:7]
	v_mov_b32_e32 v96, s10
	s_xor_b64 exec, exec, s[6:7]
	s_cbranch_execnz .LBB4_1868
.LBB4_844:                              ;   in Loop: Header=BB4_62 Depth=1
	s_or_b64 exec, exec, s[6:7]
	s_and_saveexec_b64 s[6:7], s[4:5]
	s_cbranch_execz .LBB4_846
.LBB4_845:                              ;   in Loop: Header=BB4_62 Depth=1
	v_and_b32_e32 v4, 7, v97
	v_ffbh_u32_e32 v7, v4
	v_min_u32_e32 v7, 32, v7
	v_lshrrev_b16_e32 v6, 3, v97
	v_subrev_u32_e32 v8, 28, v7
	v_and_b32_e32 v6, 15, v6
	v_lshlrev_b32_e32 v8, v8, v4
	v_sub_u32_e32 v7, 29, v7
	v_and_b32_e32 v8, 7, v8
	v_cmp_eq_u16_e32 vcc, 0, v6
	v_lshrrev_b16_e32 v5, 7, v97
	v_cndmask_b32_e32 v4, v4, v8, vcc
	v_cndmask_b32_e32 v6, v6, v7, vcc
	v_lshlrev_b32_e32 v4, 20, v4
	v_lshlrev_b32_e32 v5, 31, v5
	v_lshl_add_u32 v6, v6, 23, v126
	v_or3_b32 v96, v5, v6, v4
.LBB4_846:                              ;   in Loop: Header=BB4_62 Depth=1
	s_or_b64 exec, exec, s[6:7]
	v_cmp_gt_i16_sdwa s[6:7], v97, s24 src0_sel:BYTE_1 src1_sel:DWORD
	s_mov_b64 s[4:5], 0
                                        ; implicit-def: $sgpr10
	s_and_saveexec_b64 s[8:9], s[6:7]
	s_xor_b64 s[6:7], exec, s[8:9]
	s_cbranch_execnz .LBB4_1869
; %bb.847:                              ;   in Loop: Header=BB4_62 Depth=1
	s_or_saveexec_b64 s[6:7], s[6:7]
	v_mov_b32_e32 v91, s10
	s_xor_b64 exec, exec, s[6:7]
	s_cbranch_execnz .LBB4_1872
.LBB4_848:                              ;   in Loop: Header=BB4_62 Depth=1
	s_or_b64 exec, exec, s[6:7]
	s_and_saveexec_b64 s[6:7], s[4:5]
	s_cbranch_execz .LBB4_850
.LBB4_849:                              ;   in Loop: Header=BB4_62 Depth=1
	v_and_b32_sdwa v4, v97, v116 dst_sel:DWORD dst_unused:UNUSED_PAD src0_sel:BYTE_1 src1_sel:DWORD
	v_ffbh_u32_e32 v7, v4
	v_min_u32_e32 v7, 32, v7
	v_lshrrev_b16_e32 v6, 11, v97
	v_subrev_u32_e32 v8, 28, v7
	v_and_b32_e32 v6, 15, v6
	v_lshlrev_b32_e32 v8, v8, v4
	v_sub_u32_e32 v7, 29, v7
	v_and_b32_e32 v8, 7, v8
	v_cmp_eq_u16_e32 vcc, 0, v6
	v_lshrrev_b16_e32 v5, 15, v97
	v_cndmask_b32_e32 v4, v4, v8, vcc
	v_cndmask_b32_e32 v6, v6, v7, vcc
	v_lshlrev_b32_e32 v4, 20, v4
	v_lshlrev_b32_e32 v5, 31, v5
	v_lshl_add_u32 v6, v6, 23, v126
	v_or3_b32 v91, v5, v6, v4
.LBB4_850:                              ;   in Loop: Header=BB4_62 Depth=1
	s_or_b64 exec, exec, s[6:7]
	v_and_b32_sdwa v4, v97, s23 dst_sel:DWORD dst_unused:UNUSED_PAD src0_sel:WORD_1 src1_sel:DWORD
	v_cmp_lt_i16_e32 vcc, s24, v4
	s_mov_b64 s[4:5], 0
                                        ; implicit-def: $sgpr10
	s_and_saveexec_b64 s[6:7], vcc
	s_xor_b64 s[6:7], exec, s[6:7]
	s_cbranch_execnz .LBB4_1873
; %bb.851:                              ;   in Loop: Header=BB4_62 Depth=1
	s_or_saveexec_b64 s[6:7], s[6:7]
	v_mov_b32_e32 v92, s10
	s_xor_b64 exec, exec, s[6:7]
	s_cbranch_execnz .LBB4_1876
.LBB4_852:                              ;   in Loop: Header=BB4_62 Depth=1
	s_or_b64 exec, exec, s[6:7]
	s_and_saveexec_b64 s[6:7], s[4:5]
	s_cbranch_execz .LBB4_854
.LBB4_853:                              ;   in Loop: Header=BB4_62 Depth=1
	v_and_b32_sdwa v4, v97, v116 dst_sel:DWORD dst_unused:UNUSED_PAD src0_sel:WORD_1 src1_sel:DWORD
	v_ffbh_u32_e32 v7, v4
	v_min_u32_e32 v7, 32, v7
	v_lshrrev_b16_sdwa v6, v117, v97 dst_sel:DWORD dst_unused:UNUSED_PAD src0_sel:DWORD src1_sel:WORD_1
	v_subrev_u32_e32 v8, 28, v7
	v_and_b32_e32 v6, 15, v6
	v_lshlrev_b32_e32 v8, v8, v4
	v_sub_u32_e32 v7, 29, v7
	v_and_b32_e32 v8, 7, v8
	v_cmp_eq_u16_e32 vcc, 0, v6
	v_lshrrev_b16_sdwa v5, v116, v97 dst_sel:DWORD dst_unused:UNUSED_PAD src0_sel:DWORD src1_sel:WORD_1
	v_cndmask_b32_e32 v4, v4, v8, vcc
	v_cndmask_b32_e32 v6, v6, v7, vcc
	v_lshlrev_b32_e32 v4, 20, v4
	v_lshlrev_b32_e32 v5, 31, v5
	v_lshl_add_u32 v6, v6, 23, v126
	v_or3_b32 v92, v5, v6, v4
.LBB4_854:                              ;   in Loop: Header=BB4_62 Depth=1
	s_or_b64 exec, exec, s[6:7]
	v_lshrrev_b16_sdwa v4, v124, v97 dst_sel:DWORD dst_unused:UNUSED_PAD src0_sel:DWORD src1_sel:WORD_1
	v_cmp_lt_i16_e32 vcc, s24, v4
	s_mov_b64 s[4:5], 0
                                        ; implicit-def: $sgpr10
	s_and_saveexec_b64 s[6:7], vcc
	s_xor_b64 s[6:7], exec, s[6:7]
	s_cbranch_execnz .LBB4_1877
; %bb.855:                              ;   in Loop: Header=BB4_62 Depth=1
	s_or_saveexec_b64 s[6:7], s[6:7]
	v_mov_b32_e32 v93, s10
	s_xor_b64 exec, exec, s[6:7]
	s_cbranch_execnz .LBB4_1880
.LBB4_856:                              ;   in Loop: Header=BB4_62 Depth=1
	s_or_b64 exec, exec, s[6:7]
	s_and_saveexec_b64 s[6:7], s[4:5]
	s_cbranch_execz .LBB4_858
.LBB4_857:                              ;   in Loop: Header=BB4_62 Depth=1
	v_and_b32_e32 v4, 7, v4
	v_ffbh_u32_e32 v7, v4
	v_min_u32_e32 v7, 32, v7
	v_lshrrev_b16_sdwa v6, v60, v97 dst_sel:DWORD dst_unused:UNUSED_PAD src0_sel:DWORD src1_sel:WORD_1
	v_subrev_u32_e32 v8, 28, v7
	v_and_b32_e32 v6, 15, v6
	v_lshlrev_b32_e32 v8, v8, v4
	v_sub_u32_e32 v7, 29, v7
	v_and_b32_e32 v8, 7, v8
	v_cmp_eq_u16_e32 vcc, 0, v6
	v_lshrrev_b16_sdwa v5, v44, v97 dst_sel:DWORD dst_unused:UNUSED_PAD src0_sel:DWORD src1_sel:WORD_1
	v_cndmask_b32_e32 v4, v4, v8, vcc
	v_cndmask_b32_e32 v6, v6, v7, vcc
	v_lshlrev_b32_e32 v4, 20, v4
	v_lshlrev_b32_e32 v5, 31, v5
	v_lshl_add_u32 v6, v6, 23, v126
	v_or3_b32 v93, v5, v6, v4
.LBB4_858:                              ;   in Loop: Header=BB4_62 Depth=1
	s_or_b64 exec, exec, s[6:7]
	v_cmp_gt_i16_sdwa s[6:7], v98, s24 src0_sel:BYTE_0 src1_sel:DWORD
	s_mov_b64 s[4:5], 0
                                        ; implicit-def: $sgpr10
	s_and_saveexec_b64 s[8:9], s[6:7]
	s_xor_b64 s[6:7], exec, s[8:9]
	s_cbranch_execnz .LBB4_1881
; %bb.859:                              ;   in Loop: Header=BB4_62 Depth=1
	s_or_saveexec_b64 s[6:7], s[6:7]
	v_mov_b32_e32 v97, s10
	s_xor_b64 exec, exec, s[6:7]
	s_cbranch_execnz .LBB4_1884
.LBB4_860:                              ;   in Loop: Header=BB4_62 Depth=1
	s_or_b64 exec, exec, s[6:7]
	s_and_saveexec_b64 s[6:7], s[4:5]
	s_cbranch_execz .LBB4_862
.LBB4_861:                              ;   in Loop: Header=BB4_62 Depth=1
	v_and_b32_e32 v4, 7, v98
	v_ffbh_u32_e32 v7, v4
	v_min_u32_e32 v7, 32, v7
	v_lshrrev_b16_e32 v6, 3, v98
	v_subrev_u32_e32 v8, 28, v7
	v_and_b32_e32 v6, 15, v6
	v_lshlrev_b32_e32 v8, v8, v4
	v_sub_u32_e32 v7, 29, v7
	v_and_b32_e32 v8, 7, v8
	v_cmp_eq_u16_e32 vcc, 0, v6
	v_lshrrev_b16_e32 v5, 7, v98
	v_cndmask_b32_e32 v4, v4, v8, vcc
	v_cndmask_b32_e32 v6, v6, v7, vcc
	v_lshlrev_b32_e32 v4, 20, v4
	v_lshlrev_b32_e32 v5, 31, v5
	v_lshl_add_u32 v6, v6, 23, v126
	v_or3_b32 v97, v5, v6, v4
.LBB4_862:                              ;   in Loop: Header=BB4_62 Depth=1
	s_or_b64 exec, exec, s[6:7]
	v_cmp_gt_i16_sdwa s[6:7], v98, s24 src0_sel:BYTE_1 src1_sel:DWORD
	s_mov_b64 s[4:5], 0
                                        ; implicit-def: $sgpr10
	s_and_saveexec_b64 s[8:9], s[6:7]
	s_xor_b64 s[6:7], exec, s[8:9]
	s_cbranch_execnz .LBB4_1885
; %bb.863:                              ;   in Loop: Header=BB4_62 Depth=1
	s_or_saveexec_b64 s[6:7], s[6:7]
	v_mov_b32_e32 v94, s10
	s_xor_b64 exec, exec, s[6:7]
	s_cbranch_execnz .LBB4_1888
.LBB4_864:                              ;   in Loop: Header=BB4_62 Depth=1
	s_or_b64 exec, exec, s[6:7]
	s_and_saveexec_b64 s[6:7], s[4:5]
	s_cbranch_execz .LBB4_866
.LBB4_865:                              ;   in Loop: Header=BB4_62 Depth=1
	v_and_b32_sdwa v4, v98, v116 dst_sel:DWORD dst_unused:UNUSED_PAD src0_sel:BYTE_1 src1_sel:DWORD
	v_ffbh_u32_e32 v7, v4
	v_min_u32_e32 v7, 32, v7
	v_lshrrev_b16_e32 v6, 11, v98
	v_subrev_u32_e32 v8, 28, v7
	v_and_b32_e32 v6, 15, v6
	v_lshlrev_b32_e32 v8, v8, v4
	v_sub_u32_e32 v7, 29, v7
	v_and_b32_e32 v8, 7, v8
	v_cmp_eq_u16_e32 vcc, 0, v6
	v_lshrrev_b16_e32 v5, 15, v98
	v_cndmask_b32_e32 v4, v4, v8, vcc
	v_cndmask_b32_e32 v6, v6, v7, vcc
	v_lshlrev_b32_e32 v4, 20, v4
	v_lshlrev_b32_e32 v5, 31, v5
	v_lshl_add_u32 v6, v6, 23, v126
	v_or3_b32 v94, v5, v6, v4
.LBB4_866:                              ;   in Loop: Header=BB4_62 Depth=1
	s_or_b64 exec, exec, s[6:7]
	v_and_b32_sdwa v4, v98, s23 dst_sel:DWORD dst_unused:UNUSED_PAD src0_sel:WORD_1 src1_sel:DWORD
	v_cmp_lt_i16_e32 vcc, s24, v4
	s_mov_b64 s[4:5], 0
                                        ; implicit-def: $sgpr10
	s_and_saveexec_b64 s[6:7], vcc
	s_xor_b64 s[6:7], exec, s[6:7]
	s_cbranch_execnz .LBB4_1889
; %bb.867:                              ;   in Loop: Header=BB4_62 Depth=1
	s_or_saveexec_b64 s[6:7], s[6:7]
	v_mov_b32_e32 v95, s10
	s_xor_b64 exec, exec, s[6:7]
	s_cbranch_execnz .LBB4_1892
.LBB4_868:                              ;   in Loop: Header=BB4_62 Depth=1
	s_or_b64 exec, exec, s[6:7]
	s_and_saveexec_b64 s[6:7], s[4:5]
	s_cbranch_execz .LBB4_870
.LBB4_869:                              ;   in Loop: Header=BB4_62 Depth=1
	v_and_b32_sdwa v4, v98, v116 dst_sel:DWORD dst_unused:UNUSED_PAD src0_sel:WORD_1 src1_sel:DWORD
	v_ffbh_u32_e32 v7, v4
	v_min_u32_e32 v7, 32, v7
	v_lshrrev_b16_sdwa v6, v117, v98 dst_sel:DWORD dst_unused:UNUSED_PAD src0_sel:DWORD src1_sel:WORD_1
	v_subrev_u32_e32 v8, 28, v7
	v_and_b32_e32 v6, 15, v6
	v_lshlrev_b32_e32 v8, v8, v4
	v_sub_u32_e32 v7, 29, v7
	v_and_b32_e32 v8, 7, v8
	v_cmp_eq_u16_e32 vcc, 0, v6
	v_lshrrev_b16_sdwa v5, v116, v98 dst_sel:DWORD dst_unused:UNUSED_PAD src0_sel:DWORD src1_sel:WORD_1
	v_cndmask_b32_e32 v4, v4, v8, vcc
	v_cndmask_b32_e32 v6, v6, v7, vcc
	v_lshlrev_b32_e32 v4, 20, v4
	v_lshlrev_b32_e32 v5, 31, v5
	v_lshl_add_u32 v6, v6, 23, v126
	v_or3_b32 v95, v5, v6, v4
.LBB4_870:                              ;   in Loop: Header=BB4_62 Depth=1
	s_or_b64 exec, exec, s[6:7]
	v_lshrrev_b16_sdwa v5, v124, v98 dst_sel:DWORD dst_unused:UNUSED_PAD src0_sel:DWORD src1_sel:WORD_1
	v_cmp_lt_i16_e32 vcc, s24, v5
	s_mov_b64 s[4:5], 0
                                        ; implicit-def: $sgpr10
	s_and_saveexec_b64 s[6:7], vcc
	s_xor_b64 s[6:7], exec, s[6:7]
	s_cbranch_execnz .LBB4_1893
; %bb.871:                              ;   in Loop: Header=BB4_62 Depth=1
	s_or_saveexec_b64 s[6:7], s[6:7]
	v_mov_b32_e32 v4, s10
	s_xor_b64 exec, exec, s[6:7]
	s_cbranch_execnz .LBB4_1896
.LBB4_872:                              ;   in Loop: Header=BB4_62 Depth=1
	s_or_b64 exec, exec, s[6:7]
	s_and_saveexec_b64 s[6:7], s[4:5]
	s_cbranch_execz .LBB4_874
.LBB4_873:                              ;   in Loop: Header=BB4_62 Depth=1
	v_and_b32_e32 v4, 7, v5
	v_ffbh_u32_e32 v7, v4
	v_min_u32_e32 v7, 32, v7
	v_lshrrev_b16_sdwa v6, v60, v98 dst_sel:DWORD dst_unused:UNUSED_PAD src0_sel:DWORD src1_sel:WORD_1
	v_subrev_u32_e32 v8, 28, v7
	v_and_b32_e32 v6, 15, v6
	v_lshlrev_b32_e32 v8, v8, v4
	v_sub_u32_e32 v7, 29, v7
	v_and_b32_e32 v8, 7, v8
	v_cmp_eq_u16_e32 vcc, 0, v6
	v_lshrrev_b16_sdwa v5, v44, v98 dst_sel:DWORD dst_unused:UNUSED_PAD src0_sel:DWORD src1_sel:WORD_1
	v_cndmask_b32_e32 v4, v4, v8, vcc
	v_cndmask_b32_e32 v6, v6, v7, vcc
	v_lshlrev_b32_e32 v4, 20, v4
	v_lshlrev_b32_e32 v5, 31, v5
	v_lshl_add_u32 v6, v6, 23, v126
	v_or3_b32 v4, v5, v6, v4
.LBB4_874:                              ;   in Loop: Header=BB4_62 Depth=1
	s_or_b64 exec, exec, s[6:7]
	v_cmp_gt_i16_sdwa s[6:7], v99, s24 src0_sel:BYTE_0 src1_sel:DWORD
	s_mov_b64 s[4:5], 0
                                        ; implicit-def: $sgpr10
	s_and_saveexec_b64 s[8:9], s[6:7]
	s_xor_b64 s[6:7], exec, s[8:9]
	s_cbranch_execnz .LBB4_1897
; %bb.875:                              ;   in Loop: Header=BB4_62 Depth=1
	s_or_saveexec_b64 s[6:7], s[6:7]
	v_mov_b32_e32 v5, s10
	s_xor_b64 exec, exec, s[6:7]
	s_cbranch_execnz .LBB4_1900
.LBB4_876:                              ;   in Loop: Header=BB4_62 Depth=1
	s_or_b64 exec, exec, s[6:7]
	s_and_saveexec_b64 s[6:7], s[4:5]
	s_cbranch_execz .LBB4_878
.LBB4_877:                              ;   in Loop: Header=BB4_62 Depth=1
	v_and_b32_e32 v5, 7, v99
	v_ffbh_u32_e32 v8, v5
	v_min_u32_e32 v8, 32, v8
	v_lshrrev_b16_e32 v7, 3, v99
	v_subrev_u32_e32 v9, 28, v8
	v_and_b32_e32 v7, 15, v7
	v_lshlrev_b32_e32 v9, v9, v5
	v_sub_u32_e32 v8, 29, v8
	v_and_b32_e32 v9, 7, v9
	v_cmp_eq_u16_e32 vcc, 0, v7
	v_lshrrev_b16_e32 v6, 7, v99
	v_cndmask_b32_e32 v5, v5, v9, vcc
	v_cndmask_b32_e32 v7, v7, v8, vcc
	v_lshlrev_b32_e32 v5, 20, v5
	v_lshlrev_b32_e32 v6, 31, v6
	v_lshl_add_u32 v7, v7, 23, v126
	v_or3_b32 v5, v6, v7, v5
.LBB4_878:                              ;   in Loop: Header=BB4_62 Depth=1
	s_or_b64 exec, exec, s[6:7]
	v_cmp_gt_i16_sdwa s[6:7], v99, s24 src0_sel:BYTE_1 src1_sel:DWORD
	s_mov_b64 s[4:5], 0
                                        ; implicit-def: $sgpr10
	s_and_saveexec_b64 s[8:9], s[6:7]
	s_xor_b64 s[6:7], exec, s[8:9]
	s_cbranch_execnz .LBB4_1901
; %bb.879:                              ;   in Loop: Header=BB4_62 Depth=1
	s_or_saveexec_b64 s[6:7], s[6:7]
	v_mov_b32_e32 v6, s10
	s_xor_b64 exec, exec, s[6:7]
	s_cbranch_execnz .LBB4_1904
.LBB4_880:                              ;   in Loop: Header=BB4_62 Depth=1
	s_or_b64 exec, exec, s[6:7]
	s_and_saveexec_b64 s[6:7], s[4:5]
	s_cbranch_execz .LBB4_882
.LBB4_881:                              ;   in Loop: Header=BB4_62 Depth=1
	v_and_b32_sdwa v6, v99, v116 dst_sel:DWORD dst_unused:UNUSED_PAD src0_sel:BYTE_1 src1_sel:DWORD
	v_ffbh_u32_e32 v9, v6
	v_min_u32_e32 v9, 32, v9
	v_lshrrev_b16_e32 v8, 11, v99
	v_subrev_u32_e32 v10, 28, v9
	v_and_b32_e32 v8, 15, v8
	v_lshlrev_b32_e32 v10, v10, v6
	v_sub_u32_e32 v9, 29, v9
	v_and_b32_e32 v10, 7, v10
	v_cmp_eq_u16_e32 vcc, 0, v8
	v_lshrrev_b16_e32 v7, 15, v99
	v_cndmask_b32_e32 v6, v6, v10, vcc
	v_cndmask_b32_e32 v8, v8, v9, vcc
	v_lshlrev_b32_e32 v6, 20, v6
	v_lshlrev_b32_e32 v7, 31, v7
	v_lshl_add_u32 v8, v8, 23, v126
	v_or3_b32 v6, v7, v8, v6
.LBB4_882:                              ;   in Loop: Header=BB4_62 Depth=1
	s_or_b64 exec, exec, s[6:7]
	v_and_b32_sdwa v8, v99, s23 dst_sel:DWORD dst_unused:UNUSED_PAD src0_sel:WORD_1 src1_sel:DWORD
	v_cmp_lt_i16_e32 vcc, s24, v8
	s_mov_b64 s[4:5], 0
                                        ; implicit-def: $sgpr10
	s_and_saveexec_b64 s[6:7], vcc
	s_xor_b64 s[6:7], exec, s[6:7]
	s_cbranch_execnz .LBB4_1905
; %bb.883:                              ;   in Loop: Header=BB4_62 Depth=1
	s_or_saveexec_b64 s[6:7], s[6:7]
	v_mov_b32_e32 v7, s10
	s_xor_b64 exec, exec, s[6:7]
	s_cbranch_execnz .LBB4_1908
.LBB4_884:                              ;   in Loop: Header=BB4_62 Depth=1
	s_or_b64 exec, exec, s[6:7]
	s_and_saveexec_b64 s[6:7], s[4:5]
	s_cbranch_execz .LBB4_886
.LBB4_885:                              ;   in Loop: Header=BB4_62 Depth=1
	v_and_b32_sdwa v7, v99, v116 dst_sel:DWORD dst_unused:UNUSED_PAD src0_sel:WORD_1 src1_sel:DWORD
	v_ffbh_u32_e32 v10, v7
	v_min_u32_e32 v10, 32, v10
	v_lshrrev_b16_sdwa v9, v117, v99 dst_sel:DWORD dst_unused:UNUSED_PAD src0_sel:DWORD src1_sel:WORD_1
	v_subrev_u32_e32 v11, 28, v10
	v_and_b32_e32 v9, 15, v9
	v_lshlrev_b32_e32 v11, v11, v7
	v_sub_u32_e32 v10, 29, v10
	v_and_b32_e32 v11, 7, v11
	v_cmp_eq_u16_e32 vcc, 0, v9
	v_lshrrev_b16_sdwa v8, v116, v99 dst_sel:DWORD dst_unused:UNUSED_PAD src0_sel:DWORD src1_sel:WORD_1
	v_cndmask_b32_e32 v7, v7, v11, vcc
	v_cndmask_b32_e32 v9, v9, v10, vcc
	v_lshlrev_b32_e32 v7, 20, v7
	v_lshlrev_b32_e32 v8, 31, v8
	v_lshl_add_u32 v9, v9, 23, v126
	v_or3_b32 v7, v8, v9, v7
.LBB4_886:                              ;   in Loop: Header=BB4_62 Depth=1
	s_or_b64 exec, exec, s[6:7]
	v_lshrrev_b16_sdwa v98, v124, v99 dst_sel:DWORD dst_unused:UNUSED_PAD src0_sel:DWORD src1_sel:WORD_1
	v_cmp_lt_i16_e32 vcc, s24, v98
	s_mov_b64 s[4:5], 0
                                        ; implicit-def: $sgpr10
	s_and_saveexec_b64 s[6:7], vcc
	s_xor_b64 s[6:7], exec, s[6:7]
	s_cbranch_execnz .LBB4_1909
; %bb.887:                              ;   in Loop: Header=BB4_62 Depth=1
	s_or_saveexec_b64 s[6:7], s[6:7]
	v_mov_b32_e32 v104, s10
	s_xor_b64 exec, exec, s[6:7]
	s_cbranch_execnz .LBB4_1912
.LBB4_888:                              ;   in Loop: Header=BB4_62 Depth=1
	s_or_b64 exec, exec, s[6:7]
	s_and_saveexec_b64 s[6:7], s[4:5]
	s_cbranch_execz .LBB4_890
.LBB4_889:                              ;   in Loop: Header=BB4_62 Depth=1
	v_and_b32_e32 v8, 7, v98
	v_ffbh_u32_e32 v11, v8
	v_min_u32_e32 v11, 32, v11
	v_lshrrev_b16_sdwa v10, v60, v99 dst_sel:DWORD dst_unused:UNUSED_PAD src0_sel:DWORD src1_sel:WORD_1
	v_subrev_u32_e32 v98, 28, v11
	v_and_b32_e32 v10, 15, v10
	v_lshlrev_b32_e32 v98, v98, v8
	v_sub_u32_e32 v11, 29, v11
	v_and_b32_e32 v98, 7, v98
	v_cmp_eq_u16_e32 vcc, 0, v10
	v_lshrrev_b16_sdwa v9, v44, v99 dst_sel:DWORD dst_unused:UNUSED_PAD src0_sel:DWORD src1_sel:WORD_1
	v_cndmask_b32_e32 v8, v8, v98, vcc
	v_cndmask_b32_e32 v10, v10, v11, vcc
	v_lshlrev_b32_e32 v8, 20, v8
	v_lshlrev_b32_e32 v9, 31, v9
	v_lshl_add_u32 v10, v10, 23, v126
	v_or3_b32 v104, v9, v10, v8
.LBB4_890:                              ;   in Loop: Header=BB4_62 Depth=1
	s_or_b64 exec, exec, s[6:7]
	v_cvt_pkrtz_f16_f32 v8, v89, v90
	v_cvt_pkrtz_f16_f32 v5, v5, v6
	;; [unrolled: 1-line block ×8, first 2 shown]
	buffer_store_dword v8, off, s[0:3], s33 offset:100
	buffer_store_dword v6, off, s[0:3], s33 offset:96
	buffer_store_dword v10, off, s[0:3], s33 offset:108
	buffer_store_dword v9, off, s[0:3], s33 offset:104
	buffer_store_dword v4, off, s[0:3], s33 offset:116
	buffer_store_dword v11, off, s[0:3], s33 offset:112
	buffer_store_dword v7, off, s[0:3], s33 offset:124
	buffer_store_dword v5, off, s[0:3], s33 offset:120
	flat_load_dwordx2 v[104:105], v[102:103] offset:312
	s_nop 0
	flat_load_dword v4, v[102:103] offset:328
	s_mov_b64 s[4:5], 0
                                        ; implicit-def: $sgpr10
	s_waitcnt vmcnt(0) lgkmcnt(0)
	v_sub_u32_e32 v5, v78, v105
	v_add3_u32 v4, v5, v4, 16
	v_ashrrev_i32_e32 v5, 31, v4
	v_lshrrev_b32_e32 v5, 28, v5
	v_add_u32_e32 v5, v4, v5
	v_and_b32_e32 v5, -16, v5
	v_sub_u32_e32 v6, v79, v104
	v_sub_u32_e32 v7, v4, v75
	;; [unrolled: 1-line block ×3, first 2 shown]
	v_xor_b32_e32 v4, v75, v6
	v_sub_u32_e32 v4, v4, v74
	v_lshlrev_b32_e32 v77, 8, v7
	v_lshlrev_b32_e32 v4, 4, v4
	v_add3_u32 v4, v77, v61, v4
	v_ashrrev_i32_e32 v5, 31, v4
	v_add_co_u32_e32 v4, vcc, v72, v4
	v_addc_co_u32_e32 v5, vcc, v73, v5, vcc
	flat_load_dwordx4 v[96:99], v[4:5]
	s_waitcnt vmcnt(0) lgkmcnt(0)
	v_cmp_gt_i16_sdwa s[6:7], v96, s24 src0_sel:BYTE_0 src1_sel:DWORD
	s_and_saveexec_b64 s[8:9], s[6:7]
	s_xor_b64 s[6:7], exec, s[8:9]
	s_cbranch_execnz .LBB4_1913
; %bb.891:                              ;   in Loop: Header=BB4_62 Depth=1
	s_or_saveexec_b64 s[6:7], s[6:7]
	v_mov_b32_e32 v78, s10
	s_xor_b64 exec, exec, s[6:7]
	s_cbranch_execnz .LBB4_1916
.LBB4_892:                              ;   in Loop: Header=BB4_62 Depth=1
	s_or_b64 exec, exec, s[6:7]
	s_and_saveexec_b64 s[6:7], s[4:5]
	s_cbranch_execz .LBB4_894
.LBB4_893:                              ;   in Loop: Header=BB4_62 Depth=1
	v_and_b32_e32 v4, 7, v96
	v_ffbh_u32_e32 v7, v4
	v_min_u32_e32 v7, 32, v7
	v_lshrrev_b16_e32 v6, 3, v96
	v_subrev_u32_e32 v8, 28, v7
	v_and_b32_e32 v6, 15, v6
	v_lshlrev_b32_e32 v8, v8, v4
	v_sub_u32_e32 v7, 29, v7
	v_and_b32_e32 v8, 7, v8
	v_cmp_eq_u16_e32 vcc, 0, v6
	v_lshrrev_b16_e32 v5, 7, v96
	v_cndmask_b32_e32 v4, v4, v8, vcc
	v_cndmask_b32_e32 v6, v6, v7, vcc
	v_lshlrev_b32_e32 v4, 20, v4
	v_lshlrev_b32_e32 v5, 31, v5
	v_lshl_add_u32 v6, v6, 23, v126
	v_or3_b32 v78, v5, v6, v4
.LBB4_894:                              ;   in Loop: Header=BB4_62 Depth=1
	s_or_b64 exec, exec, s[6:7]
	v_cmp_gt_i16_sdwa s[6:7], v96, s24 src0_sel:BYTE_1 src1_sel:DWORD
	s_mov_b64 s[4:5], 0
                                        ; implicit-def: $sgpr10
	s_and_saveexec_b64 s[8:9], s[6:7]
	s_xor_b64 s[6:7], exec, s[8:9]
	s_cbranch_execnz .LBB4_1917
; %bb.895:                              ;   in Loop: Header=BB4_62 Depth=1
	s_or_saveexec_b64 s[6:7], s[6:7]
	v_mov_b32_e32 v89, s10
	s_xor_b64 exec, exec, s[6:7]
	s_cbranch_execnz .LBB4_1920
.LBB4_896:                              ;   in Loop: Header=BB4_62 Depth=1
	s_or_b64 exec, exec, s[6:7]
	s_and_saveexec_b64 s[6:7], s[4:5]
	s_cbranch_execz .LBB4_898
.LBB4_897:                              ;   in Loop: Header=BB4_62 Depth=1
	v_and_b32_sdwa v4, v96, v116 dst_sel:DWORD dst_unused:UNUSED_PAD src0_sel:BYTE_1 src1_sel:DWORD
	v_ffbh_u32_e32 v7, v4
	v_min_u32_e32 v7, 32, v7
	v_lshrrev_b16_e32 v6, 11, v96
	v_subrev_u32_e32 v8, 28, v7
	v_and_b32_e32 v6, 15, v6
	v_lshlrev_b32_e32 v8, v8, v4
	v_sub_u32_e32 v7, 29, v7
	v_and_b32_e32 v8, 7, v8
	v_cmp_eq_u16_e32 vcc, 0, v6
	v_lshrrev_b16_e32 v5, 15, v96
	v_cndmask_b32_e32 v4, v4, v8, vcc
	v_cndmask_b32_e32 v6, v6, v7, vcc
	v_lshlrev_b32_e32 v4, 20, v4
	v_lshlrev_b32_e32 v5, 31, v5
	v_lshl_add_u32 v6, v6, 23, v126
	v_or3_b32 v89, v5, v6, v4
.LBB4_898:                              ;   in Loop: Header=BB4_62 Depth=1
	s_or_b64 exec, exec, s[6:7]
	v_and_b32_sdwa v4, v96, s23 dst_sel:DWORD dst_unused:UNUSED_PAD src0_sel:WORD_1 src1_sel:DWORD
	v_cmp_lt_i16_e32 vcc, s24, v4
	s_mov_b64 s[4:5], 0
                                        ; implicit-def: $sgpr10
	s_and_saveexec_b64 s[6:7], vcc
	s_xor_b64 s[6:7], exec, s[6:7]
	s_cbranch_execnz .LBB4_1921
; %bb.899:                              ;   in Loop: Header=BB4_62 Depth=1
	s_or_saveexec_b64 s[6:7], s[6:7]
	v_mov_b32_e32 v90, s10
	s_xor_b64 exec, exec, s[6:7]
	s_cbranch_execnz .LBB4_1924
.LBB4_900:                              ;   in Loop: Header=BB4_62 Depth=1
	s_or_b64 exec, exec, s[6:7]
	s_and_saveexec_b64 s[6:7], s[4:5]
	s_cbranch_execz .LBB4_902
.LBB4_901:                              ;   in Loop: Header=BB4_62 Depth=1
	v_and_b32_sdwa v4, v96, v116 dst_sel:DWORD dst_unused:UNUSED_PAD src0_sel:WORD_1 src1_sel:DWORD
	v_ffbh_u32_e32 v7, v4
	v_min_u32_e32 v7, 32, v7
	v_lshrrev_b16_sdwa v6, v117, v96 dst_sel:DWORD dst_unused:UNUSED_PAD src0_sel:DWORD src1_sel:WORD_1
	v_subrev_u32_e32 v8, 28, v7
	v_and_b32_e32 v6, 15, v6
	v_lshlrev_b32_e32 v8, v8, v4
	v_sub_u32_e32 v7, 29, v7
	v_and_b32_e32 v8, 7, v8
	v_cmp_eq_u16_e32 vcc, 0, v6
	v_lshrrev_b16_sdwa v5, v116, v96 dst_sel:DWORD dst_unused:UNUSED_PAD src0_sel:DWORD src1_sel:WORD_1
	v_cndmask_b32_e32 v4, v4, v8, vcc
	v_cndmask_b32_e32 v6, v6, v7, vcc
	v_lshlrev_b32_e32 v4, 20, v4
	v_lshlrev_b32_e32 v5, 31, v5
	v_lshl_add_u32 v6, v6, 23, v126
	v_or3_b32 v90, v5, v6, v4
.LBB4_902:                              ;   in Loop: Header=BB4_62 Depth=1
	s_or_b64 exec, exec, s[6:7]
	v_lshrrev_b16_sdwa v4, v124, v96 dst_sel:DWORD dst_unused:UNUSED_PAD src0_sel:DWORD src1_sel:WORD_1
	v_cmp_lt_i16_e32 vcc, s24, v4
	s_mov_b64 s[4:5], 0
                                        ; implicit-def: $sgpr10
	s_and_saveexec_b64 s[6:7], vcc
	s_xor_b64 s[6:7], exec, s[6:7]
	s_cbranch_execnz .LBB4_1925
; %bb.903:                              ;   in Loop: Header=BB4_62 Depth=1
	s_or_saveexec_b64 s[6:7], s[6:7]
	v_mov_b32_e32 v91, s10
	s_xor_b64 exec, exec, s[6:7]
	s_cbranch_execnz .LBB4_1928
.LBB4_904:                              ;   in Loop: Header=BB4_62 Depth=1
	s_or_b64 exec, exec, s[6:7]
	s_and_saveexec_b64 s[6:7], s[4:5]
	s_cbranch_execz .LBB4_906
.LBB4_905:                              ;   in Loop: Header=BB4_62 Depth=1
	v_and_b32_e32 v4, 7, v4
	v_ffbh_u32_e32 v7, v4
	v_min_u32_e32 v7, 32, v7
	v_lshrrev_b16_sdwa v6, v60, v96 dst_sel:DWORD dst_unused:UNUSED_PAD src0_sel:DWORD src1_sel:WORD_1
	v_subrev_u32_e32 v8, 28, v7
	v_and_b32_e32 v6, 15, v6
	v_lshlrev_b32_e32 v8, v8, v4
	v_sub_u32_e32 v7, 29, v7
	v_and_b32_e32 v8, 7, v8
	v_cmp_eq_u16_e32 vcc, 0, v6
	v_lshrrev_b16_sdwa v5, v44, v96 dst_sel:DWORD dst_unused:UNUSED_PAD src0_sel:DWORD src1_sel:WORD_1
	v_cndmask_b32_e32 v4, v4, v8, vcc
	v_cndmask_b32_e32 v6, v6, v7, vcc
	v_lshlrev_b32_e32 v4, 20, v4
	v_lshlrev_b32_e32 v5, 31, v5
	v_lshl_add_u32 v6, v6, 23, v126
	v_or3_b32 v91, v5, v6, v4
.LBB4_906:                              ;   in Loop: Header=BB4_62 Depth=1
	s_or_b64 exec, exec, s[6:7]
	v_cmp_gt_i16_sdwa s[6:7], v97, s24 src0_sel:BYTE_0 src1_sel:DWORD
	s_mov_b64 s[4:5], 0
                                        ; implicit-def: $sgpr10
	s_and_saveexec_b64 s[8:9], s[6:7]
	s_xor_b64 s[6:7], exec, s[8:9]
	s_cbranch_execnz .LBB4_1929
; %bb.907:                              ;   in Loop: Header=BB4_62 Depth=1
	s_or_saveexec_b64 s[6:7], s[6:7]
	v_mov_b32_e32 v96, s10
	s_xor_b64 exec, exec, s[6:7]
	s_cbranch_execnz .LBB4_1932
.LBB4_908:                              ;   in Loop: Header=BB4_62 Depth=1
	s_or_b64 exec, exec, s[6:7]
	s_and_saveexec_b64 s[6:7], s[4:5]
	s_cbranch_execz .LBB4_910
.LBB4_909:                              ;   in Loop: Header=BB4_62 Depth=1
	v_and_b32_e32 v4, 7, v97
	v_ffbh_u32_e32 v7, v4
	v_min_u32_e32 v7, 32, v7
	v_lshrrev_b16_e32 v6, 3, v97
	v_subrev_u32_e32 v8, 28, v7
	v_and_b32_e32 v6, 15, v6
	v_lshlrev_b32_e32 v8, v8, v4
	v_sub_u32_e32 v7, 29, v7
	v_and_b32_e32 v8, 7, v8
	v_cmp_eq_u16_e32 vcc, 0, v6
	v_lshrrev_b16_e32 v5, 7, v97
	v_cndmask_b32_e32 v4, v4, v8, vcc
	v_cndmask_b32_e32 v6, v6, v7, vcc
	v_lshlrev_b32_e32 v4, 20, v4
	v_lshlrev_b32_e32 v5, 31, v5
	v_lshl_add_u32 v6, v6, 23, v126
	v_or3_b32 v96, v5, v6, v4
.LBB4_910:                              ;   in Loop: Header=BB4_62 Depth=1
	s_or_b64 exec, exec, s[6:7]
	v_cmp_gt_i16_sdwa s[6:7], v97, s24 src0_sel:BYTE_1 src1_sel:DWORD
	s_mov_b64 s[4:5], 0
                                        ; implicit-def: $sgpr10
	s_and_saveexec_b64 s[8:9], s[6:7]
	s_xor_b64 s[6:7], exec, s[8:9]
	s_cbranch_execnz .LBB4_1933
; %bb.911:                              ;   in Loop: Header=BB4_62 Depth=1
	s_or_saveexec_b64 s[6:7], s[6:7]
	v_mov_b32_e32 v92, s10
	s_xor_b64 exec, exec, s[6:7]
	s_cbranch_execnz .LBB4_1936
.LBB4_912:                              ;   in Loop: Header=BB4_62 Depth=1
	s_or_b64 exec, exec, s[6:7]
	s_and_saveexec_b64 s[6:7], s[4:5]
	s_cbranch_execz .LBB4_914
.LBB4_913:                              ;   in Loop: Header=BB4_62 Depth=1
	v_and_b32_sdwa v4, v97, v116 dst_sel:DWORD dst_unused:UNUSED_PAD src0_sel:BYTE_1 src1_sel:DWORD
	v_ffbh_u32_e32 v7, v4
	v_min_u32_e32 v7, 32, v7
	v_lshrrev_b16_e32 v6, 11, v97
	v_subrev_u32_e32 v8, 28, v7
	v_and_b32_e32 v6, 15, v6
	v_lshlrev_b32_e32 v8, v8, v4
	v_sub_u32_e32 v7, 29, v7
	v_and_b32_e32 v8, 7, v8
	v_cmp_eq_u16_e32 vcc, 0, v6
	v_lshrrev_b16_e32 v5, 15, v97
	v_cndmask_b32_e32 v4, v4, v8, vcc
	v_cndmask_b32_e32 v6, v6, v7, vcc
	v_lshlrev_b32_e32 v4, 20, v4
	v_lshlrev_b32_e32 v5, 31, v5
	v_lshl_add_u32 v6, v6, 23, v126
	v_or3_b32 v92, v5, v6, v4
.LBB4_914:                              ;   in Loop: Header=BB4_62 Depth=1
	s_or_b64 exec, exec, s[6:7]
	v_and_b32_sdwa v4, v97, s23 dst_sel:DWORD dst_unused:UNUSED_PAD src0_sel:WORD_1 src1_sel:DWORD
	v_cmp_lt_i16_e32 vcc, s24, v4
	s_mov_b64 s[4:5], 0
                                        ; implicit-def: $sgpr10
	s_and_saveexec_b64 s[6:7], vcc
	s_xor_b64 s[6:7], exec, s[6:7]
	s_cbranch_execnz .LBB4_1937
; %bb.915:                              ;   in Loop: Header=BB4_62 Depth=1
	s_or_saveexec_b64 s[6:7], s[6:7]
	v_mov_b32_e32 v93, s10
	s_xor_b64 exec, exec, s[6:7]
	s_cbranch_execnz .LBB4_1940
.LBB4_916:                              ;   in Loop: Header=BB4_62 Depth=1
	s_or_b64 exec, exec, s[6:7]
	s_and_saveexec_b64 s[6:7], s[4:5]
	s_cbranch_execz .LBB4_918
.LBB4_917:                              ;   in Loop: Header=BB4_62 Depth=1
	v_and_b32_sdwa v4, v97, v116 dst_sel:DWORD dst_unused:UNUSED_PAD src0_sel:WORD_1 src1_sel:DWORD
	v_ffbh_u32_e32 v7, v4
	v_min_u32_e32 v7, 32, v7
	v_lshrrev_b16_sdwa v6, v117, v97 dst_sel:DWORD dst_unused:UNUSED_PAD src0_sel:DWORD src1_sel:WORD_1
	v_subrev_u32_e32 v8, 28, v7
	v_and_b32_e32 v6, 15, v6
	v_lshlrev_b32_e32 v8, v8, v4
	v_sub_u32_e32 v7, 29, v7
	v_and_b32_e32 v8, 7, v8
	v_cmp_eq_u16_e32 vcc, 0, v6
	v_lshrrev_b16_sdwa v5, v116, v97 dst_sel:DWORD dst_unused:UNUSED_PAD src0_sel:DWORD src1_sel:WORD_1
	v_cndmask_b32_e32 v4, v4, v8, vcc
	v_cndmask_b32_e32 v6, v6, v7, vcc
	v_lshlrev_b32_e32 v4, 20, v4
	v_lshlrev_b32_e32 v5, 31, v5
	v_lshl_add_u32 v6, v6, 23, v126
	v_or3_b32 v93, v5, v6, v4
.LBB4_918:                              ;   in Loop: Header=BB4_62 Depth=1
	s_or_b64 exec, exec, s[6:7]
	v_lshrrev_b16_sdwa v4, v124, v97 dst_sel:DWORD dst_unused:UNUSED_PAD src0_sel:DWORD src1_sel:WORD_1
	v_cmp_lt_i16_e32 vcc, s24, v4
	s_mov_b64 s[4:5], 0
                                        ; implicit-def: $sgpr10
	s_and_saveexec_b64 s[6:7], vcc
	s_xor_b64 s[6:7], exec, s[6:7]
	s_cbranch_execnz .LBB4_1941
; %bb.919:                              ;   in Loop: Header=BB4_62 Depth=1
	s_or_saveexec_b64 s[6:7], s[6:7]
	v_mov_b32_e32 v105, s10
	s_xor_b64 exec, exec, s[6:7]
	s_cbranch_execnz .LBB4_1944
.LBB4_920:                              ;   in Loop: Header=BB4_62 Depth=1
	s_or_b64 exec, exec, s[6:7]
	s_and_saveexec_b64 s[6:7], s[4:5]
	s_cbranch_execz .LBB4_922
.LBB4_921:                              ;   in Loop: Header=BB4_62 Depth=1
	v_and_b32_e32 v4, 7, v4
	v_ffbh_u32_e32 v7, v4
	v_min_u32_e32 v7, 32, v7
	v_lshrrev_b16_sdwa v6, v60, v97 dst_sel:DWORD dst_unused:UNUSED_PAD src0_sel:DWORD src1_sel:WORD_1
	v_subrev_u32_e32 v8, 28, v7
	v_and_b32_e32 v6, 15, v6
	v_lshlrev_b32_e32 v8, v8, v4
	v_sub_u32_e32 v7, 29, v7
	v_and_b32_e32 v8, 7, v8
	v_cmp_eq_u16_e32 vcc, 0, v6
	v_lshrrev_b16_sdwa v5, v44, v97 dst_sel:DWORD dst_unused:UNUSED_PAD src0_sel:DWORD src1_sel:WORD_1
	v_cndmask_b32_e32 v4, v4, v8, vcc
	v_cndmask_b32_e32 v6, v6, v7, vcc
	v_lshlrev_b32_e32 v4, 20, v4
	v_lshlrev_b32_e32 v5, 31, v5
	v_lshl_add_u32 v6, v6, 23, v126
	v_or3_b32 v105, v5, v6, v4
.LBB4_922:                              ;   in Loop: Header=BB4_62 Depth=1
	s_or_b64 exec, exec, s[6:7]
	v_cmp_gt_i16_sdwa s[6:7], v98, s24 src0_sel:BYTE_0 src1_sel:DWORD
	s_mov_b64 s[4:5], 0
                                        ; implicit-def: $sgpr10
	s_and_saveexec_b64 s[8:9], s[6:7]
	s_xor_b64 s[6:7], exec, s[8:9]
	s_cbranch_execnz .LBB4_1945
; %bb.923:                              ;   in Loop: Header=BB4_62 Depth=1
	s_or_saveexec_b64 s[6:7], s[6:7]
	v_mov_b32_e32 v97, s10
	s_xor_b64 exec, exec, s[6:7]
	s_cbranch_execnz .LBB4_1948
.LBB4_924:                              ;   in Loop: Header=BB4_62 Depth=1
	s_or_b64 exec, exec, s[6:7]
	s_and_saveexec_b64 s[6:7], s[4:5]
	s_cbranch_execz .LBB4_926
.LBB4_925:                              ;   in Loop: Header=BB4_62 Depth=1
	v_and_b32_e32 v4, 7, v98
	v_ffbh_u32_e32 v7, v4
	v_min_u32_e32 v7, 32, v7
	v_lshrrev_b16_e32 v6, 3, v98
	v_subrev_u32_e32 v8, 28, v7
	v_and_b32_e32 v6, 15, v6
	v_lshlrev_b32_e32 v8, v8, v4
	v_sub_u32_e32 v7, 29, v7
	v_and_b32_e32 v8, 7, v8
	v_cmp_eq_u16_e32 vcc, 0, v6
	v_lshrrev_b16_e32 v5, 7, v98
	v_cndmask_b32_e32 v4, v4, v8, vcc
	v_cndmask_b32_e32 v6, v6, v7, vcc
	v_lshlrev_b32_e32 v4, 20, v4
	v_lshlrev_b32_e32 v5, 31, v5
	v_lshl_add_u32 v6, v6, 23, v126
	v_or3_b32 v97, v5, v6, v4
.LBB4_926:                              ;   in Loop: Header=BB4_62 Depth=1
	s_or_b64 exec, exec, s[6:7]
	v_cmp_gt_i16_sdwa s[6:7], v98, s24 src0_sel:BYTE_1 src1_sel:DWORD
	s_mov_b64 s[4:5], 0
                                        ; implicit-def: $sgpr10
	s_and_saveexec_b64 s[8:9], s[6:7]
	s_xor_b64 s[6:7], exec, s[8:9]
	s_cbranch_execnz .LBB4_1949
; %bb.927:                              ;   in Loop: Header=BB4_62 Depth=1
	s_or_saveexec_b64 s[6:7], s[6:7]
	v_mov_b32_e32 v106, s10
	s_xor_b64 exec, exec, s[6:7]
	s_cbranch_execnz .LBB4_1952
.LBB4_928:                              ;   in Loop: Header=BB4_62 Depth=1
	s_or_b64 exec, exec, s[6:7]
	s_and_saveexec_b64 s[6:7], s[4:5]
	s_cbranch_execz .LBB4_930
.LBB4_929:                              ;   in Loop: Header=BB4_62 Depth=1
	v_and_b32_sdwa v4, v98, v116 dst_sel:DWORD dst_unused:UNUSED_PAD src0_sel:BYTE_1 src1_sel:DWORD
	v_ffbh_u32_e32 v7, v4
	v_min_u32_e32 v7, 32, v7
	v_lshrrev_b16_e32 v6, 11, v98
	v_subrev_u32_e32 v8, 28, v7
	v_and_b32_e32 v6, 15, v6
	v_lshlrev_b32_e32 v8, v8, v4
	v_sub_u32_e32 v7, 29, v7
	v_and_b32_e32 v8, 7, v8
	v_cmp_eq_u16_e32 vcc, 0, v6
	v_lshrrev_b16_e32 v5, 15, v98
	v_cndmask_b32_e32 v4, v4, v8, vcc
	v_cndmask_b32_e32 v6, v6, v7, vcc
	v_lshlrev_b32_e32 v4, 20, v4
	v_lshlrev_b32_e32 v5, 31, v5
	v_lshl_add_u32 v6, v6, 23, v126
	v_or3_b32 v106, v5, v6, v4
.LBB4_930:                              ;   in Loop: Header=BB4_62 Depth=1
	s_or_b64 exec, exec, s[6:7]
	v_and_b32_sdwa v4, v98, s23 dst_sel:DWORD dst_unused:UNUSED_PAD src0_sel:WORD_1 src1_sel:DWORD
	v_cmp_lt_i16_e32 vcc, s24, v4
	s_mov_b64 s[4:5], 0
                                        ; implicit-def: $sgpr10
	s_and_saveexec_b64 s[6:7], vcc
	s_xor_b64 s[6:7], exec, s[6:7]
	s_cbranch_execnz .LBB4_1953
; %bb.931:                              ;   in Loop: Header=BB4_62 Depth=1
	s_or_saveexec_b64 s[6:7], s[6:7]
	v_mov_b32_e32 v107, s10
	s_xor_b64 exec, exec, s[6:7]
	s_cbranch_execnz .LBB4_1956
.LBB4_932:                              ;   in Loop: Header=BB4_62 Depth=1
	s_or_b64 exec, exec, s[6:7]
	s_and_saveexec_b64 s[6:7], s[4:5]
	s_cbranch_execz .LBB4_934
.LBB4_933:                              ;   in Loop: Header=BB4_62 Depth=1
	v_and_b32_sdwa v4, v98, v116 dst_sel:DWORD dst_unused:UNUSED_PAD src0_sel:WORD_1 src1_sel:DWORD
	v_ffbh_u32_e32 v7, v4
	v_min_u32_e32 v7, 32, v7
	v_lshrrev_b16_sdwa v6, v117, v98 dst_sel:DWORD dst_unused:UNUSED_PAD src0_sel:DWORD src1_sel:WORD_1
	v_subrev_u32_e32 v8, 28, v7
	v_and_b32_e32 v6, 15, v6
	v_lshlrev_b32_e32 v8, v8, v4
	v_sub_u32_e32 v7, 29, v7
	v_and_b32_e32 v8, 7, v8
	v_cmp_eq_u16_e32 vcc, 0, v6
	v_lshrrev_b16_sdwa v5, v116, v98 dst_sel:DWORD dst_unused:UNUSED_PAD src0_sel:DWORD src1_sel:WORD_1
	v_cndmask_b32_e32 v4, v4, v8, vcc
	v_cndmask_b32_e32 v6, v6, v7, vcc
	v_lshlrev_b32_e32 v4, 20, v4
	v_lshlrev_b32_e32 v5, 31, v5
	v_lshl_add_u32 v6, v6, 23, v126
	v_or3_b32 v107, v5, v6, v4
.LBB4_934:                              ;   in Loop: Header=BB4_62 Depth=1
	s_or_b64 exec, exec, s[6:7]
	v_lshrrev_b16_sdwa v5, v124, v98 dst_sel:DWORD dst_unused:UNUSED_PAD src0_sel:DWORD src1_sel:WORD_1
	v_cmp_lt_i16_e32 vcc, s24, v5
	s_mov_b64 s[4:5], 0
                                        ; implicit-def: $sgpr10
	s_and_saveexec_b64 s[6:7], vcc
	s_xor_b64 s[6:7], exec, s[6:7]
	s_cbranch_execnz .LBB4_1957
; %bb.935:                              ;   in Loop: Header=BB4_62 Depth=1
	s_or_saveexec_b64 s[6:7], s[6:7]
	v_mov_b32_e32 v4, s10
	s_xor_b64 exec, exec, s[6:7]
	s_cbranch_execnz .LBB4_1960
.LBB4_936:                              ;   in Loop: Header=BB4_62 Depth=1
	s_or_b64 exec, exec, s[6:7]
	s_and_saveexec_b64 s[6:7], s[4:5]
	s_cbranch_execz .LBB4_938
.LBB4_937:                              ;   in Loop: Header=BB4_62 Depth=1
	v_and_b32_e32 v4, 7, v5
	v_ffbh_u32_e32 v7, v4
	v_min_u32_e32 v7, 32, v7
	v_lshrrev_b16_sdwa v6, v60, v98 dst_sel:DWORD dst_unused:UNUSED_PAD src0_sel:DWORD src1_sel:WORD_1
	v_subrev_u32_e32 v8, 28, v7
	v_and_b32_e32 v6, 15, v6
	v_lshlrev_b32_e32 v8, v8, v4
	v_sub_u32_e32 v7, 29, v7
	v_and_b32_e32 v8, 7, v8
	v_cmp_eq_u16_e32 vcc, 0, v6
	v_lshrrev_b16_sdwa v5, v44, v98 dst_sel:DWORD dst_unused:UNUSED_PAD src0_sel:DWORD src1_sel:WORD_1
	v_cndmask_b32_e32 v4, v4, v8, vcc
	v_cndmask_b32_e32 v6, v6, v7, vcc
	v_lshlrev_b32_e32 v4, 20, v4
	v_lshlrev_b32_e32 v5, 31, v5
	v_lshl_add_u32 v6, v6, 23, v126
	v_or3_b32 v4, v5, v6, v4
.LBB4_938:                              ;   in Loop: Header=BB4_62 Depth=1
	s_or_b64 exec, exec, s[6:7]
	v_cmp_gt_i16_sdwa s[6:7], v99, s24 src0_sel:BYTE_0 src1_sel:DWORD
	s_mov_b64 s[4:5], 0
                                        ; implicit-def: $sgpr10
	s_and_saveexec_b64 s[8:9], s[6:7]
	s_xor_b64 s[6:7], exec, s[8:9]
	s_cbranch_execnz .LBB4_1961
; %bb.939:                              ;   in Loop: Header=BB4_62 Depth=1
	s_or_saveexec_b64 s[6:7], s[6:7]
	v_mov_b32_e32 v5, s10
	s_xor_b64 exec, exec, s[6:7]
	s_cbranch_execnz .LBB4_1964
.LBB4_940:                              ;   in Loop: Header=BB4_62 Depth=1
	s_or_b64 exec, exec, s[6:7]
	s_and_saveexec_b64 s[6:7], s[4:5]
	s_cbranch_execz .LBB4_942
.LBB4_941:                              ;   in Loop: Header=BB4_62 Depth=1
	v_and_b32_e32 v5, 7, v99
	v_ffbh_u32_e32 v8, v5
	v_min_u32_e32 v8, 32, v8
	v_lshrrev_b16_e32 v7, 3, v99
	v_subrev_u32_e32 v9, 28, v8
	v_and_b32_e32 v7, 15, v7
	v_lshlrev_b32_e32 v9, v9, v5
	v_sub_u32_e32 v8, 29, v8
	v_and_b32_e32 v9, 7, v9
	v_cmp_eq_u16_e32 vcc, 0, v7
	v_lshrrev_b16_e32 v6, 7, v99
	v_cndmask_b32_e32 v5, v5, v9, vcc
	v_cndmask_b32_e32 v7, v7, v8, vcc
	v_lshlrev_b32_e32 v5, 20, v5
	v_lshlrev_b32_e32 v6, 31, v6
	v_lshl_add_u32 v7, v7, 23, v126
	v_or3_b32 v5, v6, v7, v5
.LBB4_942:                              ;   in Loop: Header=BB4_62 Depth=1
	s_or_b64 exec, exec, s[6:7]
	v_cmp_gt_i16_sdwa s[6:7], v99, s24 src0_sel:BYTE_1 src1_sel:DWORD
	s_mov_b64 s[4:5], 0
                                        ; implicit-def: $sgpr10
	s_and_saveexec_b64 s[8:9], s[6:7]
	s_xor_b64 s[6:7], exec, s[8:9]
	s_cbranch_execnz .LBB4_1965
; %bb.943:                              ;   in Loop: Header=BB4_62 Depth=1
	s_or_saveexec_b64 s[6:7], s[6:7]
	v_mov_b32_e32 v6, s10
	s_xor_b64 exec, exec, s[6:7]
	s_cbranch_execnz .LBB4_1968
.LBB4_944:                              ;   in Loop: Header=BB4_62 Depth=1
	s_or_b64 exec, exec, s[6:7]
	s_and_saveexec_b64 s[6:7], s[4:5]
	s_cbranch_execz .LBB4_946
.LBB4_945:                              ;   in Loop: Header=BB4_62 Depth=1
	v_and_b32_sdwa v6, v99, v116 dst_sel:DWORD dst_unused:UNUSED_PAD src0_sel:BYTE_1 src1_sel:DWORD
	v_ffbh_u32_e32 v9, v6
	v_min_u32_e32 v9, 32, v9
	v_lshrrev_b16_e32 v8, 11, v99
	v_subrev_u32_e32 v10, 28, v9
	v_and_b32_e32 v8, 15, v8
	v_lshlrev_b32_e32 v10, v10, v6
	v_sub_u32_e32 v9, 29, v9
	v_and_b32_e32 v10, 7, v10
	v_cmp_eq_u16_e32 vcc, 0, v8
	v_lshrrev_b16_e32 v7, 15, v99
	v_cndmask_b32_e32 v6, v6, v10, vcc
	v_cndmask_b32_e32 v8, v8, v9, vcc
	v_lshlrev_b32_e32 v6, 20, v6
	v_lshlrev_b32_e32 v7, 31, v7
	v_lshl_add_u32 v8, v8, 23, v126
	v_or3_b32 v6, v7, v8, v6
.LBB4_946:                              ;   in Loop: Header=BB4_62 Depth=1
	s_or_b64 exec, exec, s[6:7]
	v_and_b32_sdwa v8, v99, s23 dst_sel:DWORD dst_unused:UNUSED_PAD src0_sel:WORD_1 src1_sel:DWORD
	v_cmp_lt_i16_e32 vcc, s24, v8
	s_mov_b64 s[4:5], 0
                                        ; implicit-def: $sgpr10
	s_and_saveexec_b64 s[6:7], vcc
	s_xor_b64 s[6:7], exec, s[6:7]
	s_cbranch_execnz .LBB4_1969
; %bb.947:                              ;   in Loop: Header=BB4_62 Depth=1
	s_or_saveexec_b64 s[6:7], s[6:7]
	v_mov_b32_e32 v7, s10
	s_xor_b64 exec, exec, s[6:7]
	s_cbranch_execnz .LBB4_1972
.LBB4_948:                              ;   in Loop: Header=BB4_62 Depth=1
	s_or_b64 exec, exec, s[6:7]
	s_and_saveexec_b64 s[6:7], s[4:5]
	s_cbranch_execz .LBB4_950
.LBB4_949:                              ;   in Loop: Header=BB4_62 Depth=1
	v_and_b32_sdwa v7, v99, v116 dst_sel:DWORD dst_unused:UNUSED_PAD src0_sel:WORD_1 src1_sel:DWORD
	v_ffbh_u32_e32 v10, v7
	v_min_u32_e32 v10, 32, v10
	v_lshrrev_b16_sdwa v9, v117, v99 dst_sel:DWORD dst_unused:UNUSED_PAD src0_sel:DWORD src1_sel:WORD_1
	v_subrev_u32_e32 v11, 28, v10
	v_and_b32_e32 v9, 15, v9
	v_lshlrev_b32_e32 v11, v11, v7
	v_sub_u32_e32 v10, 29, v10
	v_and_b32_e32 v11, 7, v11
	v_cmp_eq_u16_e32 vcc, 0, v9
	v_lshrrev_b16_sdwa v8, v116, v99 dst_sel:DWORD dst_unused:UNUSED_PAD src0_sel:DWORD src1_sel:WORD_1
	v_cndmask_b32_e32 v7, v7, v11, vcc
	v_cndmask_b32_e32 v9, v9, v10, vcc
	v_lshlrev_b32_e32 v7, 20, v7
	v_lshlrev_b32_e32 v8, 31, v8
	v_lshl_add_u32 v9, v9, 23, v126
	v_or3_b32 v7, v8, v9, v7
.LBB4_950:                              ;   in Loop: Header=BB4_62 Depth=1
	s_or_b64 exec, exec, s[6:7]
	v_lshrrev_b16_sdwa v98, v124, v99 dst_sel:DWORD dst_unused:UNUSED_PAD src0_sel:DWORD src1_sel:WORD_1
	v_cmp_lt_i16_e32 vcc, s24, v98
	s_mov_b64 s[4:5], 0
                                        ; implicit-def: $sgpr10
	s_and_saveexec_b64 s[6:7], vcc
	s_xor_b64 s[6:7], exec, s[6:7]
	s_cbranch_execnz .LBB4_1973
; %bb.951:                              ;   in Loop: Header=BB4_62 Depth=1
	s_or_saveexec_b64 s[6:7], s[6:7]
	v_mov_b32_e32 v108, s10
	s_xor_b64 exec, exec, s[6:7]
	s_cbranch_execnz .LBB4_1976
.LBB4_952:                              ;   in Loop: Header=BB4_62 Depth=1
	s_or_b64 exec, exec, s[6:7]
	s_and_saveexec_b64 s[6:7], s[4:5]
	s_cbranch_execz .LBB4_954
.LBB4_953:                              ;   in Loop: Header=BB4_62 Depth=1
	v_and_b32_e32 v8, 7, v98
	v_ffbh_u32_e32 v11, v8
	v_min_u32_e32 v11, 32, v11
	v_lshrrev_b16_sdwa v10, v60, v99 dst_sel:DWORD dst_unused:UNUSED_PAD src0_sel:DWORD src1_sel:WORD_1
	v_subrev_u32_e32 v98, 28, v11
	v_and_b32_e32 v10, 15, v10
	v_lshlrev_b32_e32 v98, v98, v8
	v_sub_u32_e32 v11, 29, v11
	v_and_b32_e32 v98, 7, v98
	v_cmp_eq_u16_e32 vcc, 0, v10
	v_lshrrev_b16_sdwa v9, v44, v99 dst_sel:DWORD dst_unused:UNUSED_PAD src0_sel:DWORD src1_sel:WORD_1
	v_cndmask_b32_e32 v8, v8, v98, vcc
	v_cndmask_b32_e32 v10, v10, v11, vcc
	v_lshlrev_b32_e32 v8, 20, v8
	v_lshlrev_b32_e32 v9, 31, v9
	v_lshl_add_u32 v10, v10, 23, v126
	v_or3_b32 v108, v9, v10, v8
.LBB4_954:                              ;   in Loop: Header=BB4_62 Depth=1
	s_or_b64 exec, exec, s[6:7]
	v_cvt_pkrtz_f16_f32 v95, v90, v91
	v_cvt_pkrtz_f16_f32 v91, v107, v4
	v_add_u32_e32 v4, v63, v104
	v_sub_u32_e32 v63, v79, v4
	v_add_u32_e32 v3, v63, v3
	v_xor_b32_e32 v3, v75, v3
	v_sub_u32_e32 v3, v3, v74
	v_sub_u32_e32 v4, v61, v76
	v_lshlrev_b32_e32 v3, 4, v3
	v_add_u32_e32 v2, v4, v2
	v_add3_u32 v2, v2, v77, v3
	v_ashrrev_i32_e32 v3, 31, v2
	v_add_co_u32_e32 v2, vcc, v72, v2
	v_cvt_pkrtz_f16_f32 v88, v5, v6
	v_cvt_pkrtz_f16_f32 v94, v78, v89
	;; [unrolled: 1-line block ×6, first 2 shown]
	buffer_store_dword v95, off, s[0:3], s33 offset:132
	buffer_store_dword v94, off, s[0:3], s33 offset:128
	;; [unrolled: 1-line block ×8, first 2 shown]
	v_addc_co_u32_e32 v3, vcc, v73, v3, vcc
	flat_load_dwordx4 v[96:99], v[2:3]
	s_mov_b64 s[4:5], 0
                                        ; implicit-def: $sgpr10
	s_waitcnt vmcnt(0) lgkmcnt(0)
	v_cmp_gt_i16_sdwa s[6:7], v96, s24 src0_sel:BYTE_0 src1_sel:DWORD
	s_and_saveexec_b64 s[8:9], s[6:7]
	s_xor_b64 s[6:7], exec, s[8:9]
	s_cbranch_execnz .LBB4_1977
; %bb.955:                              ;   in Loop: Header=BB4_62 Depth=1
	s_or_saveexec_b64 s[6:7], s[6:7]
	v_mov_b32_e32 v2, s10
	s_xor_b64 exec, exec, s[6:7]
	s_cbranch_execnz .LBB4_1980
.LBB4_956:                              ;   in Loop: Header=BB4_62 Depth=1
	s_or_b64 exec, exec, s[6:7]
	s_and_saveexec_b64 s[6:7], s[4:5]
	s_cbranch_execz .LBB4_958
.LBB4_957:                              ;   in Loop: Header=BB4_62 Depth=1
	v_and_b32_e32 v2, 7, v96
	v_ffbh_u32_e32 v5, v2
	v_min_u32_e32 v5, 32, v5
	v_lshrrev_b16_e32 v4, 3, v96
	v_subrev_u32_e32 v6, 28, v5
	v_and_b32_e32 v4, 15, v4
	v_lshlrev_b32_e32 v6, v6, v2
	v_sub_u32_e32 v5, 29, v5
	v_and_b32_e32 v6, 7, v6
	v_cmp_eq_u16_e32 vcc, 0, v4
	v_lshrrev_b16_e32 v3, 7, v96
	v_cndmask_b32_e32 v2, v2, v6, vcc
	v_cndmask_b32_e32 v4, v4, v5, vcc
	v_lshlrev_b32_e32 v2, 20, v2
	v_lshlrev_b32_e32 v3, 31, v3
	v_lshl_add_u32 v4, v4, 23, v126
	v_or3_b32 v2, v3, v4, v2
.LBB4_958:                              ;   in Loop: Header=BB4_62 Depth=1
	s_or_b64 exec, exec, s[6:7]
	v_cmp_gt_i16_sdwa s[6:7], v96, s24 src0_sel:BYTE_1 src1_sel:DWORD
	s_mov_b64 s[4:5], 0
                                        ; implicit-def: $sgpr10
	s_and_saveexec_b64 s[8:9], s[6:7]
	s_xor_b64 s[6:7], exec, s[8:9]
	s_cbranch_execnz .LBB4_1981
; %bb.959:                              ;   in Loop: Header=BB4_62 Depth=1
	s_or_saveexec_b64 s[6:7], s[6:7]
	v_mov_b32_e32 v3, s10
	s_xor_b64 exec, exec, s[6:7]
	s_cbranch_execnz .LBB4_1984
.LBB4_960:                              ;   in Loop: Header=BB4_62 Depth=1
	s_or_b64 exec, exec, s[6:7]
	s_and_saveexec_b64 s[6:7], s[4:5]
	s_cbranch_execz .LBB4_962
.LBB4_961:                              ;   in Loop: Header=BB4_62 Depth=1
	v_and_b32_sdwa v3, v96, v116 dst_sel:DWORD dst_unused:UNUSED_PAD src0_sel:BYTE_1 src1_sel:DWORD
	v_ffbh_u32_e32 v6, v3
	v_min_u32_e32 v6, 32, v6
	v_lshrrev_b16_e32 v5, 11, v96
	v_subrev_u32_e32 v7, 28, v6
	v_and_b32_e32 v5, 15, v5
	v_lshlrev_b32_e32 v7, v7, v3
	v_sub_u32_e32 v6, 29, v6
	v_and_b32_e32 v7, 7, v7
	v_cmp_eq_u16_e32 vcc, 0, v5
	v_lshrrev_b16_e32 v4, 15, v96
	v_cndmask_b32_e32 v3, v3, v7, vcc
	v_cndmask_b32_e32 v5, v5, v6, vcc
	v_lshlrev_b32_e32 v3, 20, v3
	v_lshlrev_b32_e32 v4, 31, v4
	v_lshl_add_u32 v5, v5, 23, v126
	v_or3_b32 v3, v4, v5, v3
.LBB4_962:                              ;   in Loop: Header=BB4_62 Depth=1
	s_or_b64 exec, exec, s[6:7]
	v_and_b32_sdwa v4, v96, s23 dst_sel:DWORD dst_unused:UNUSED_PAD src0_sel:WORD_1 src1_sel:DWORD
	v_cmp_lt_i16_e32 vcc, s24, v4
	s_mov_b64 s[4:5], 0
                                        ; implicit-def: $sgpr10
	s_and_saveexec_b64 s[6:7], vcc
	s_xor_b64 s[6:7], exec, s[6:7]
	s_cbranch_execnz .LBB4_1985
; %bb.963:                              ;   in Loop: Header=BB4_62 Depth=1
	s_or_saveexec_b64 s[6:7], s[6:7]
	v_mov_b32_e32 v61, s10
	s_xor_b64 exec, exec, s[6:7]
	s_cbranch_execnz .LBB4_1988
.LBB4_964:                              ;   in Loop: Header=BB4_62 Depth=1
	s_or_b64 exec, exec, s[6:7]
	s_and_saveexec_b64 s[6:7], s[4:5]
	s_cbranch_execz .LBB4_966
.LBB4_965:                              ;   in Loop: Header=BB4_62 Depth=1
	v_and_b32_sdwa v4, v96, v116 dst_sel:DWORD dst_unused:UNUSED_PAD src0_sel:WORD_1 src1_sel:DWORD
	v_ffbh_u32_e32 v7, v4
	v_min_u32_e32 v7, 32, v7
	v_lshrrev_b16_sdwa v6, v117, v96 dst_sel:DWORD dst_unused:UNUSED_PAD src0_sel:DWORD src1_sel:WORD_1
	v_subrev_u32_e32 v8, 28, v7
	v_and_b32_e32 v6, 15, v6
	v_lshlrev_b32_e32 v8, v8, v4
	v_sub_u32_e32 v7, 29, v7
	v_and_b32_e32 v8, 7, v8
	v_cmp_eq_u16_e32 vcc, 0, v6
	v_lshrrev_b16_sdwa v5, v116, v96 dst_sel:DWORD dst_unused:UNUSED_PAD src0_sel:DWORD src1_sel:WORD_1
	v_cndmask_b32_e32 v4, v4, v8, vcc
	v_cndmask_b32_e32 v6, v6, v7, vcc
	v_lshlrev_b32_e32 v4, 20, v4
	v_lshlrev_b32_e32 v5, 31, v5
	v_lshl_add_u32 v6, v6, 23, v126
	v_or3_b32 v61, v5, v6, v4
.LBB4_966:                              ;   in Loop: Header=BB4_62 Depth=1
	s_or_b64 exec, exec, s[6:7]
	v_lshrrev_b16_sdwa v4, v124, v96 dst_sel:DWORD dst_unused:UNUSED_PAD src0_sel:DWORD src1_sel:WORD_1
	v_cmp_lt_i16_e32 vcc, s24, v4
	s_mov_b64 s[4:5], 0
                                        ; implicit-def: $sgpr10
	s_and_saveexec_b64 s[6:7], vcc
	s_xor_b64 s[6:7], exec, s[6:7]
	s_cbranch_execnz .LBB4_1989
; %bb.967:                              ;   in Loop: Header=BB4_62 Depth=1
	s_or_saveexec_b64 s[6:7], s[6:7]
	v_mov_b32_e32 v79, s10
	s_xor_b64 exec, exec, s[6:7]
	s_cbranch_execnz .LBB4_1992
.LBB4_968:                              ;   in Loop: Header=BB4_62 Depth=1
	s_or_b64 exec, exec, s[6:7]
	s_and_saveexec_b64 s[6:7], s[4:5]
	s_cbranch_execz .LBB4_970
.LBB4_969:                              ;   in Loop: Header=BB4_62 Depth=1
	v_and_b32_e32 v4, 7, v4
	v_ffbh_u32_e32 v7, v4
	v_min_u32_e32 v7, 32, v7
	v_lshrrev_b16_sdwa v6, v60, v96 dst_sel:DWORD dst_unused:UNUSED_PAD src0_sel:DWORD src1_sel:WORD_1
	v_subrev_u32_e32 v8, 28, v7
	v_and_b32_e32 v6, 15, v6
	v_lshlrev_b32_e32 v8, v8, v4
	v_sub_u32_e32 v7, 29, v7
	v_and_b32_e32 v8, 7, v8
	v_cmp_eq_u16_e32 vcc, 0, v6
	v_lshrrev_b16_sdwa v5, v44, v96 dst_sel:DWORD dst_unused:UNUSED_PAD src0_sel:DWORD src1_sel:WORD_1
	v_cndmask_b32_e32 v4, v4, v8, vcc
	v_cndmask_b32_e32 v6, v6, v7, vcc
	v_lshlrev_b32_e32 v4, 20, v4
	v_lshlrev_b32_e32 v5, 31, v5
	v_lshl_add_u32 v6, v6, 23, v126
	v_or3_b32 v79, v5, v6, v4
.LBB4_970:                              ;   in Loop: Header=BB4_62 Depth=1
	s_or_b64 exec, exec, s[6:7]
	v_cmp_gt_i16_sdwa s[6:7], v97, s24 src0_sel:BYTE_0 src1_sel:DWORD
	s_mov_b64 s[4:5], 0
                                        ; implicit-def: $sgpr10
	s_and_saveexec_b64 s[8:9], s[6:7]
	s_xor_b64 s[6:7], exec, s[8:9]
	s_cbranch_execnz .LBB4_1993
; %bb.971:                              ;   in Loop: Header=BB4_62 Depth=1
	s_or_saveexec_b64 s[6:7], s[6:7]
	v_mov_b32_e32 v96, s10
	s_xor_b64 exec, exec, s[6:7]
	s_cbranch_execnz .LBB4_1996
.LBB4_972:                              ;   in Loop: Header=BB4_62 Depth=1
	s_or_b64 exec, exec, s[6:7]
	s_and_saveexec_b64 s[6:7], s[4:5]
	s_cbranch_execz .LBB4_974
.LBB4_973:                              ;   in Loop: Header=BB4_62 Depth=1
	v_and_b32_e32 v4, 7, v97
	v_ffbh_u32_e32 v7, v4
	v_min_u32_e32 v7, 32, v7
	v_lshrrev_b16_e32 v6, 3, v97
	v_subrev_u32_e32 v8, 28, v7
	v_and_b32_e32 v6, 15, v6
	v_lshlrev_b32_e32 v8, v8, v4
	v_sub_u32_e32 v7, 29, v7
	v_and_b32_e32 v8, 7, v8
	v_cmp_eq_u16_e32 vcc, 0, v6
	v_lshrrev_b16_e32 v5, 7, v97
	v_cndmask_b32_e32 v4, v4, v8, vcc
	v_cndmask_b32_e32 v6, v6, v7, vcc
	v_lshlrev_b32_e32 v4, 20, v4
	v_lshlrev_b32_e32 v5, 31, v5
	v_lshl_add_u32 v6, v6, 23, v126
	v_or3_b32 v96, v5, v6, v4
.LBB4_974:                              ;   in Loop: Header=BB4_62 Depth=1
	s_or_b64 exec, exec, s[6:7]
	v_cmp_gt_i16_sdwa s[6:7], v97, s24 src0_sel:BYTE_1 src1_sel:DWORD
	s_mov_b64 s[4:5], 0
                                        ; implicit-def: $sgpr10
	s_and_saveexec_b64 s[8:9], s[6:7]
	s_xor_b64 s[6:7], exec, s[8:9]
	s_cbranch_execnz .LBB4_1997
; %bb.975:                              ;   in Loop: Header=BB4_62 Depth=1
	s_or_saveexec_b64 s[6:7], s[6:7]
	v_mov_b32_e32 v104, s10
	s_xor_b64 exec, exec, s[6:7]
	s_cbranch_execnz .LBB4_2000
.LBB4_976:                              ;   in Loop: Header=BB4_62 Depth=1
	s_or_b64 exec, exec, s[6:7]
	s_and_saveexec_b64 s[6:7], s[4:5]
	s_cbranch_execz .LBB4_978
.LBB4_977:                              ;   in Loop: Header=BB4_62 Depth=1
	v_and_b32_sdwa v4, v97, v116 dst_sel:DWORD dst_unused:UNUSED_PAD src0_sel:BYTE_1 src1_sel:DWORD
	v_ffbh_u32_e32 v7, v4
	v_min_u32_e32 v7, 32, v7
	v_lshrrev_b16_e32 v6, 11, v97
	v_subrev_u32_e32 v8, 28, v7
	v_and_b32_e32 v6, 15, v6
	v_lshlrev_b32_e32 v8, v8, v4
	v_sub_u32_e32 v7, 29, v7
	v_and_b32_e32 v8, 7, v8
	v_cmp_eq_u16_e32 vcc, 0, v6
	v_lshrrev_b16_e32 v5, 15, v97
	v_cndmask_b32_e32 v4, v4, v8, vcc
	v_cndmask_b32_e32 v6, v6, v7, vcc
	v_lshlrev_b32_e32 v4, 20, v4
	v_lshlrev_b32_e32 v5, 31, v5
	v_lshl_add_u32 v6, v6, 23, v126
	v_or3_b32 v104, v5, v6, v4
.LBB4_978:                              ;   in Loop: Header=BB4_62 Depth=1
	s_or_b64 exec, exec, s[6:7]
	v_and_b32_sdwa v4, v97, s23 dst_sel:DWORD dst_unused:UNUSED_PAD src0_sel:WORD_1 src1_sel:DWORD
	v_cmp_lt_i16_e32 vcc, s24, v4
	s_mov_b64 s[4:5], 0
                                        ; implicit-def: $sgpr10
	s_and_saveexec_b64 s[6:7], vcc
	s_xor_b64 s[6:7], exec, s[6:7]
	s_cbranch_execnz .LBB4_2001
; %bb.979:                              ;   in Loop: Header=BB4_62 Depth=1
	s_or_saveexec_b64 s[6:7], s[6:7]
	v_mov_b32_e32 v105, s10
	s_xor_b64 exec, exec, s[6:7]
	s_cbranch_execnz .LBB4_2004
.LBB4_980:                              ;   in Loop: Header=BB4_62 Depth=1
	s_or_b64 exec, exec, s[6:7]
	s_and_saveexec_b64 s[6:7], s[4:5]
	s_cbranch_execz .LBB4_982
.LBB4_981:                              ;   in Loop: Header=BB4_62 Depth=1
	v_and_b32_sdwa v4, v97, v116 dst_sel:DWORD dst_unused:UNUSED_PAD src0_sel:WORD_1 src1_sel:DWORD
	v_ffbh_u32_e32 v7, v4
	v_min_u32_e32 v7, 32, v7
	v_lshrrev_b16_sdwa v6, v117, v97 dst_sel:DWORD dst_unused:UNUSED_PAD src0_sel:DWORD src1_sel:WORD_1
	v_subrev_u32_e32 v8, 28, v7
	v_and_b32_e32 v6, 15, v6
	v_lshlrev_b32_e32 v8, v8, v4
	v_sub_u32_e32 v7, 29, v7
	v_and_b32_e32 v8, 7, v8
	v_cmp_eq_u16_e32 vcc, 0, v6
	v_lshrrev_b16_sdwa v5, v116, v97 dst_sel:DWORD dst_unused:UNUSED_PAD src0_sel:DWORD src1_sel:WORD_1
	v_cndmask_b32_e32 v4, v4, v8, vcc
	v_cndmask_b32_e32 v6, v6, v7, vcc
	v_lshlrev_b32_e32 v4, 20, v4
	v_lshlrev_b32_e32 v5, 31, v5
	v_lshl_add_u32 v6, v6, 23, v126
	v_or3_b32 v105, v5, v6, v4
.LBB4_982:                              ;   in Loop: Header=BB4_62 Depth=1
	s_or_b64 exec, exec, s[6:7]
	v_lshrrev_b16_sdwa v4, v124, v97 dst_sel:DWORD dst_unused:UNUSED_PAD src0_sel:DWORD src1_sel:WORD_1
	v_cmp_lt_i16_e32 vcc, s24, v4
	s_mov_b64 s[4:5], 0
                                        ; implicit-def: $sgpr10
	s_and_saveexec_b64 s[6:7], vcc
	s_xor_b64 s[6:7], exec, s[6:7]
	s_cbranch_execnz .LBB4_2005
; %bb.983:                              ;   in Loop: Header=BB4_62 Depth=1
	s_or_saveexec_b64 s[6:7], s[6:7]
	v_mov_b32_e32 v107, s10
	s_xor_b64 exec, exec, s[6:7]
	s_cbranch_execnz .LBB4_2008
.LBB4_984:                              ;   in Loop: Header=BB4_62 Depth=1
	s_or_b64 exec, exec, s[6:7]
	s_and_saveexec_b64 s[6:7], s[4:5]
	s_cbranch_execz .LBB4_986
.LBB4_985:                              ;   in Loop: Header=BB4_62 Depth=1
	v_and_b32_e32 v4, 7, v4
	v_ffbh_u32_e32 v7, v4
	v_min_u32_e32 v7, 32, v7
	v_lshrrev_b16_sdwa v6, v60, v97 dst_sel:DWORD dst_unused:UNUSED_PAD src0_sel:DWORD src1_sel:WORD_1
	v_subrev_u32_e32 v8, 28, v7
	v_and_b32_e32 v6, 15, v6
	v_lshlrev_b32_e32 v8, v8, v4
	v_sub_u32_e32 v7, 29, v7
	v_and_b32_e32 v8, 7, v8
	v_cmp_eq_u16_e32 vcc, 0, v6
	v_lshrrev_b16_sdwa v5, v44, v97 dst_sel:DWORD dst_unused:UNUSED_PAD src0_sel:DWORD src1_sel:WORD_1
	v_cndmask_b32_e32 v4, v4, v8, vcc
	v_cndmask_b32_e32 v6, v6, v7, vcc
	v_lshlrev_b32_e32 v4, 20, v4
	v_lshlrev_b32_e32 v5, 31, v5
	v_lshl_add_u32 v6, v6, 23, v126
	v_or3_b32 v107, v5, v6, v4
.LBB4_986:                              ;   in Loop: Header=BB4_62 Depth=1
	s_or_b64 exec, exec, s[6:7]
	v_cmp_gt_i16_sdwa s[6:7], v98, s24 src0_sel:BYTE_0 src1_sel:DWORD
	s_mov_b64 s[4:5], 0
                                        ; implicit-def: $sgpr10
	s_and_saveexec_b64 s[8:9], s[6:7]
	s_xor_b64 s[6:7], exec, s[8:9]
	s_cbranch_execnz .LBB4_2009
; %bb.987:                              ;   in Loop: Header=BB4_62 Depth=1
	s_or_saveexec_b64 s[6:7], s[6:7]
	v_mov_b32_e32 v97, s10
	s_xor_b64 exec, exec, s[6:7]
	s_cbranch_execnz .LBB4_2012
.LBB4_988:                              ;   in Loop: Header=BB4_62 Depth=1
	s_or_b64 exec, exec, s[6:7]
	s_and_saveexec_b64 s[6:7], s[4:5]
	s_cbranch_execz .LBB4_990
.LBB4_989:                              ;   in Loop: Header=BB4_62 Depth=1
	v_and_b32_e32 v4, 7, v98
	v_ffbh_u32_e32 v7, v4
	v_min_u32_e32 v7, 32, v7
	v_lshrrev_b16_e32 v6, 3, v98
	v_subrev_u32_e32 v8, 28, v7
	v_and_b32_e32 v6, 15, v6
	v_lshlrev_b32_e32 v8, v8, v4
	v_sub_u32_e32 v7, 29, v7
	v_and_b32_e32 v8, 7, v8
	v_cmp_eq_u16_e32 vcc, 0, v6
	v_lshrrev_b16_e32 v5, 7, v98
	v_cndmask_b32_e32 v4, v4, v8, vcc
	v_cndmask_b32_e32 v6, v6, v7, vcc
	v_lshlrev_b32_e32 v4, 20, v4
	v_lshlrev_b32_e32 v5, 31, v5
	v_lshl_add_u32 v6, v6, 23, v126
	v_or3_b32 v97, v5, v6, v4
.LBB4_990:                              ;   in Loop: Header=BB4_62 Depth=1
	s_or_b64 exec, exec, s[6:7]
	v_cmp_gt_i16_sdwa s[6:7], v98, s24 src0_sel:BYTE_1 src1_sel:DWORD
	s_mov_b64 s[4:5], 0
                                        ; implicit-def: $sgpr10
	s_and_saveexec_b64 s[8:9], s[6:7]
	s_xor_b64 s[6:7], exec, s[8:9]
	s_cbranch_execnz .LBB4_2013
; %bb.991:                              ;   in Loop: Header=BB4_62 Depth=1
	s_or_saveexec_b64 s[6:7], s[6:7]
	v_mov_b32_e32 v110, s10
	s_xor_b64 exec, exec, s[6:7]
	s_cbranch_execnz .LBB4_2016
.LBB4_992:                              ;   in Loop: Header=BB4_62 Depth=1
	s_or_b64 exec, exec, s[6:7]
	s_and_saveexec_b64 s[6:7], s[4:5]
	s_cbranch_execz .LBB4_994
.LBB4_993:                              ;   in Loop: Header=BB4_62 Depth=1
	v_and_b32_sdwa v4, v98, v116 dst_sel:DWORD dst_unused:UNUSED_PAD src0_sel:BYTE_1 src1_sel:DWORD
	v_ffbh_u32_e32 v7, v4
	v_min_u32_e32 v7, 32, v7
	v_lshrrev_b16_e32 v6, 11, v98
	v_subrev_u32_e32 v8, 28, v7
	v_and_b32_e32 v6, 15, v6
	v_lshlrev_b32_e32 v8, v8, v4
	v_sub_u32_e32 v7, 29, v7
	v_and_b32_e32 v8, 7, v8
	v_cmp_eq_u16_e32 vcc, 0, v6
	v_lshrrev_b16_e32 v5, 15, v98
	v_cndmask_b32_e32 v4, v4, v8, vcc
	v_cndmask_b32_e32 v6, v6, v7, vcc
	v_lshlrev_b32_e32 v4, 20, v4
	v_lshlrev_b32_e32 v5, 31, v5
	v_lshl_add_u32 v6, v6, 23, v126
	v_or3_b32 v110, v5, v6, v4
.LBB4_994:                              ;   in Loop: Header=BB4_62 Depth=1
	s_or_b64 exec, exec, s[6:7]
	v_and_b32_sdwa v4, v98, s23 dst_sel:DWORD dst_unused:UNUSED_PAD src0_sel:WORD_1 src1_sel:DWORD
	v_cmp_lt_i16_e32 vcc, s24, v4
	s_mov_b64 s[4:5], 0
                                        ; implicit-def: $sgpr10
	s_and_saveexec_b64 s[6:7], vcc
	s_xor_b64 s[6:7], exec, s[6:7]
	s_cbranch_execnz .LBB4_2017
; %bb.995:                              ;   in Loop: Header=BB4_62 Depth=1
	s_or_saveexec_b64 s[6:7], s[6:7]
	v_mov_b32_e32 v111, s10
	s_xor_b64 exec, exec, s[6:7]
	s_cbranch_execnz .LBB4_2020
.LBB4_996:                              ;   in Loop: Header=BB4_62 Depth=1
	s_or_b64 exec, exec, s[6:7]
	s_and_saveexec_b64 s[6:7], s[4:5]
	s_cbranch_execz .LBB4_998
.LBB4_997:                              ;   in Loop: Header=BB4_62 Depth=1
	v_and_b32_sdwa v4, v98, v116 dst_sel:DWORD dst_unused:UNUSED_PAD src0_sel:WORD_1 src1_sel:DWORD
	v_ffbh_u32_e32 v7, v4
	v_min_u32_e32 v7, 32, v7
	v_lshrrev_b16_sdwa v6, v117, v98 dst_sel:DWORD dst_unused:UNUSED_PAD src0_sel:DWORD src1_sel:WORD_1
	v_subrev_u32_e32 v8, 28, v7
	v_and_b32_e32 v6, 15, v6
	v_lshlrev_b32_e32 v8, v8, v4
	v_sub_u32_e32 v7, 29, v7
	v_and_b32_e32 v8, 7, v8
	v_cmp_eq_u16_e32 vcc, 0, v6
	v_lshrrev_b16_sdwa v5, v116, v98 dst_sel:DWORD dst_unused:UNUSED_PAD src0_sel:DWORD src1_sel:WORD_1
	v_cndmask_b32_e32 v4, v4, v8, vcc
	v_cndmask_b32_e32 v6, v6, v7, vcc
	v_lshlrev_b32_e32 v4, 20, v4
	v_lshlrev_b32_e32 v5, 31, v5
	v_lshl_add_u32 v6, v6, 23, v126
	v_or3_b32 v111, v5, v6, v4
.LBB4_998:                              ;   in Loop: Header=BB4_62 Depth=1
	s_or_b64 exec, exec, s[6:7]
	v_lshrrev_b16_sdwa v5, v124, v98 dst_sel:DWORD dst_unused:UNUSED_PAD src0_sel:DWORD src1_sel:WORD_1
	v_cmp_lt_i16_e32 vcc, s24, v5
	s_mov_b64 s[4:5], 0
                                        ; implicit-def: $sgpr10
	s_and_saveexec_b64 s[6:7], vcc
	s_xor_b64 s[6:7], exec, s[6:7]
	s_cbranch_execnz .LBB4_2021
; %bb.999:                              ;   in Loop: Header=BB4_62 Depth=1
	s_or_saveexec_b64 s[6:7], s[6:7]
	v_mov_b32_e32 v4, s10
	s_xor_b64 exec, exec, s[6:7]
	s_cbranch_execnz .LBB4_2024
.LBB4_1000:                             ;   in Loop: Header=BB4_62 Depth=1
	s_or_b64 exec, exec, s[6:7]
	s_and_saveexec_b64 s[6:7], s[4:5]
	s_cbranch_execz .LBB4_1002
.LBB4_1001:                             ;   in Loop: Header=BB4_62 Depth=1
	v_and_b32_e32 v4, 7, v5
	v_ffbh_u32_e32 v7, v4
	v_min_u32_e32 v7, 32, v7
	v_lshrrev_b16_sdwa v6, v60, v98 dst_sel:DWORD dst_unused:UNUSED_PAD src0_sel:DWORD src1_sel:WORD_1
	v_subrev_u32_e32 v8, 28, v7
	v_and_b32_e32 v6, 15, v6
	v_lshlrev_b32_e32 v8, v8, v4
	v_sub_u32_e32 v7, 29, v7
	v_and_b32_e32 v8, 7, v8
	v_cmp_eq_u16_e32 vcc, 0, v6
	v_lshrrev_b16_sdwa v5, v44, v98 dst_sel:DWORD dst_unused:UNUSED_PAD src0_sel:DWORD src1_sel:WORD_1
	v_cndmask_b32_e32 v4, v4, v8, vcc
	v_cndmask_b32_e32 v6, v6, v7, vcc
	v_lshlrev_b32_e32 v4, 20, v4
	v_lshlrev_b32_e32 v5, 31, v5
	v_lshl_add_u32 v6, v6, 23, v126
	v_or3_b32 v4, v5, v6, v4
.LBB4_1002:                             ;   in Loop: Header=BB4_62 Depth=1
	s_or_b64 exec, exec, s[6:7]
	v_cmp_gt_i16_sdwa s[6:7], v99, s24 src0_sel:BYTE_0 src1_sel:DWORD
	s_mov_b64 s[4:5], 0
                                        ; implicit-def: $sgpr10
	s_and_saveexec_b64 s[8:9], s[6:7]
	s_xor_b64 s[6:7], exec, s[8:9]
	s_cbranch_execnz .LBB4_2025
; %bb.1003:                             ;   in Loop: Header=BB4_62 Depth=1
	s_or_saveexec_b64 s[6:7], s[6:7]
	v_mov_b32_e32 v5, s10
	s_xor_b64 exec, exec, s[6:7]
	s_cbranch_execnz .LBB4_2028
.LBB4_1004:                             ;   in Loop: Header=BB4_62 Depth=1
	s_or_b64 exec, exec, s[6:7]
	s_and_saveexec_b64 s[6:7], s[4:5]
	s_cbranch_execz .LBB4_1006
.LBB4_1005:                             ;   in Loop: Header=BB4_62 Depth=1
	v_and_b32_e32 v5, 7, v99
	v_ffbh_u32_e32 v8, v5
	v_min_u32_e32 v8, 32, v8
	v_lshrrev_b16_e32 v7, 3, v99
	v_subrev_u32_e32 v9, 28, v8
	v_and_b32_e32 v7, 15, v7
	v_lshlrev_b32_e32 v9, v9, v5
	v_sub_u32_e32 v8, 29, v8
	v_and_b32_e32 v9, 7, v9
	v_cmp_eq_u16_e32 vcc, 0, v7
	v_lshrrev_b16_e32 v6, 7, v99
	v_cndmask_b32_e32 v5, v5, v9, vcc
	v_cndmask_b32_e32 v7, v7, v8, vcc
	v_lshlrev_b32_e32 v5, 20, v5
	v_lshlrev_b32_e32 v6, 31, v6
	v_lshl_add_u32 v7, v7, 23, v126
	v_or3_b32 v5, v6, v7, v5
.LBB4_1006:                             ;   in Loop: Header=BB4_62 Depth=1
	s_or_b64 exec, exec, s[6:7]
	v_cmp_gt_i16_sdwa s[6:7], v99, s24 src0_sel:BYTE_1 src1_sel:DWORD
	s_mov_b64 s[4:5], 0
                                        ; implicit-def: $sgpr10
	s_and_saveexec_b64 s[8:9], s[6:7]
	s_xor_b64 s[6:7], exec, s[8:9]
	s_cbranch_execnz .LBB4_2029
; %bb.1007:                             ;   in Loop: Header=BB4_62 Depth=1
	s_or_saveexec_b64 s[6:7], s[6:7]
	v_mov_b32_e32 v6, s10
	s_xor_b64 exec, exec, s[6:7]
	s_cbranch_execnz .LBB4_2032
.LBB4_1008:                             ;   in Loop: Header=BB4_62 Depth=1
	s_or_b64 exec, exec, s[6:7]
	s_and_saveexec_b64 s[6:7], s[4:5]
	s_cbranch_execz .LBB4_1010
.LBB4_1009:                             ;   in Loop: Header=BB4_62 Depth=1
	v_and_b32_sdwa v6, v99, v116 dst_sel:DWORD dst_unused:UNUSED_PAD src0_sel:BYTE_1 src1_sel:DWORD
	v_ffbh_u32_e32 v9, v6
	v_min_u32_e32 v9, 32, v9
	v_lshrrev_b16_e32 v8, 11, v99
	v_subrev_u32_e32 v10, 28, v9
	v_and_b32_e32 v8, 15, v8
	v_lshlrev_b32_e32 v10, v10, v6
	v_sub_u32_e32 v9, 29, v9
	v_and_b32_e32 v10, 7, v10
	v_cmp_eq_u16_e32 vcc, 0, v8
	v_lshrrev_b16_e32 v7, 15, v99
	v_cndmask_b32_e32 v6, v6, v10, vcc
	v_cndmask_b32_e32 v8, v8, v9, vcc
	v_lshlrev_b32_e32 v6, 20, v6
	v_lshlrev_b32_e32 v7, 31, v7
	v_lshl_add_u32 v8, v8, 23, v126
	v_or3_b32 v6, v7, v8, v6
.LBB4_1010:                             ;   in Loop: Header=BB4_62 Depth=1
	s_or_b64 exec, exec, s[6:7]
	v_and_b32_sdwa v8, v99, s23 dst_sel:DWORD dst_unused:UNUSED_PAD src0_sel:WORD_1 src1_sel:DWORD
	v_cmp_lt_i16_e32 vcc, s24, v8
	s_mov_b64 s[4:5], 0
                                        ; implicit-def: $sgpr10
	s_and_saveexec_b64 s[6:7], vcc
	s_xor_b64 s[6:7], exec, s[6:7]
	s_cbranch_execnz .LBB4_2033
; %bb.1011:                             ;   in Loop: Header=BB4_62 Depth=1
	s_or_saveexec_b64 s[6:7], s[6:7]
	v_mov_b32_e32 v7, s10
	s_xor_b64 exec, exec, s[6:7]
	s_cbranch_execnz .LBB4_2036
.LBB4_1012:                             ;   in Loop: Header=BB4_62 Depth=1
	s_or_b64 exec, exec, s[6:7]
	s_and_saveexec_b64 s[6:7], s[4:5]
	s_cbranch_execz .LBB4_1014
.LBB4_1013:                             ;   in Loop: Header=BB4_62 Depth=1
	v_and_b32_sdwa v7, v99, v116 dst_sel:DWORD dst_unused:UNUSED_PAD src0_sel:WORD_1 src1_sel:DWORD
	v_ffbh_u32_e32 v10, v7
	v_min_u32_e32 v10, 32, v10
	v_lshrrev_b16_sdwa v9, v117, v99 dst_sel:DWORD dst_unused:UNUSED_PAD src0_sel:DWORD src1_sel:WORD_1
	v_subrev_u32_e32 v11, 28, v10
	v_and_b32_e32 v9, 15, v9
	v_lshlrev_b32_e32 v11, v11, v7
	v_sub_u32_e32 v10, 29, v10
	v_and_b32_e32 v11, 7, v11
	v_cmp_eq_u16_e32 vcc, 0, v9
	v_lshrrev_b16_sdwa v8, v116, v99 dst_sel:DWORD dst_unused:UNUSED_PAD src0_sel:DWORD src1_sel:WORD_1
	v_cndmask_b32_e32 v7, v7, v11, vcc
	v_cndmask_b32_e32 v9, v9, v10, vcc
	v_lshlrev_b32_e32 v7, 20, v7
	v_lshlrev_b32_e32 v8, 31, v8
	v_lshl_add_u32 v9, v9, 23, v126
	v_or3_b32 v7, v8, v9, v7
.LBB4_1014:                             ;   in Loop: Header=BB4_62 Depth=1
	s_or_b64 exec, exec, s[6:7]
	v_lshrrev_b16_sdwa v98, v124, v99 dst_sel:DWORD dst_unused:UNUSED_PAD src0_sel:DWORD src1_sel:WORD_1
	v_cmp_lt_i16_e32 vcc, s24, v98
	s_mov_b64 s[4:5], 0
                                        ; implicit-def: $sgpr10
	s_and_saveexec_b64 s[6:7], vcc
	s_xor_b64 s[6:7], exec, s[6:7]
	s_cbranch_execnz .LBB4_2037
; %bb.1015:                             ;   in Loop: Header=BB4_62 Depth=1
	s_or_saveexec_b64 s[6:7], s[6:7]
	v_mov_b32_e32 v120, s10
	s_xor_b64 exec, exec, s[6:7]
	s_cbranch_execnz .LBB4_2040
.LBB4_1016:                             ;   in Loop: Header=BB4_62 Depth=1
	s_or_b64 exec, exec, s[6:7]
	s_and_saveexec_b64 s[6:7], s[4:5]
	s_cbranch_execz .LBB4_1018
.LBB4_1017:                             ;   in Loop: Header=BB4_62 Depth=1
	v_and_b32_e32 v8, 7, v98
	v_ffbh_u32_e32 v11, v8
	v_min_u32_e32 v11, 32, v11
	v_lshrrev_b16_sdwa v10, v60, v99 dst_sel:DWORD dst_unused:UNUSED_PAD src0_sel:DWORD src1_sel:WORD_1
	v_subrev_u32_e32 v98, 28, v11
	v_and_b32_e32 v10, 15, v10
	v_lshlrev_b32_e32 v98, v98, v8
	v_sub_u32_e32 v11, 29, v11
	v_and_b32_e32 v98, 7, v98
	v_cmp_eq_u16_e32 vcc, 0, v10
	v_lshrrev_b16_sdwa v9, v44, v99 dst_sel:DWORD dst_unused:UNUSED_PAD src0_sel:DWORD src1_sel:WORD_1
	v_cndmask_b32_e32 v8, v8, v98, vcc
	v_cndmask_b32_e32 v10, v10, v11, vcc
	v_lshlrev_b32_e32 v8, 20, v8
	v_lshlrev_b32_e32 v9, 31, v9
	v_lshl_add_u32 v10, v10, 23, v126
	v_or3_b32 v120, v9, v10, v8
.LBB4_1018:                             ;   in Loop: Header=BB4_62 Depth=1
	s_or_b64 exec, exec, s[6:7]
	v_cvt_pkrtz_f16_f32 v108, v2, v3
	v_cvt_pkrtz_f16_f32 v109, v61, v79
	v_accvgpr_read_b32 v2, a34
	v_cvt_pkrtz_f16_f32 v78, v5, v6
	v_cvt_pkrtz_f16_f32 v106, v96, v104
	;; [unrolled: 1-line block ×6, first 2 shown]
	buffer_store_dword v109, off, s[0:3], s33 offset:164
	buffer_store_dword v108, off, s[0:3], s33 offset:160
	buffer_store_dword v107, off, s[0:3], s33 offset:172
	buffer_store_dword v106, off, s[0:3], s33 offset:168
	buffer_store_dword v105, off, s[0:3], s33 offset:180
	buffer_store_dword v104, off, s[0:3], s33 offset:176
	buffer_store_dword v79, off, s[0:3], s33 offset:188
	buffer_store_dword v78, off, s[0:3], s33 offset:184
	v_accvgpr_read_b32 v3, a35
	flat_load_dword v2, v[2:3]
	v_add_u32_e32 v1, v63, v1
	v_xor_b32_e32 v1, v75, v1
	v_sub_u32_e32 v1, v1, v74
	v_lshlrev_b32_e32 v3, 4, v1
	s_mov_b64 s[4:5], 0
                                        ; implicit-def: $sgpr10
	s_waitcnt vmcnt(0) lgkmcnt(0)
	v_sub_u32_e32 v1, v2, v76
	v_add_u32_e32 v1, v1, v77
	v_add3_u32 v2, v3, v115, v1
	v_ashrrev_i32_e32 v3, 31, v2
	v_add_co_u32_e32 v2, vcc, v72, v2
	v_addc_co_u32_e32 v3, vcc, v73, v3, vcc
	flat_load_dwordx4 v[96:99], v[2:3]
	s_waitcnt vmcnt(0) lgkmcnt(0)
	v_cmp_gt_i16_sdwa s[6:7], v96, s24 src0_sel:BYTE_0 src1_sel:DWORD
	s_and_saveexec_b64 s[8:9], s[6:7]
	s_xor_b64 s[6:7], exec, s[8:9]
	s_cbranch_execnz .LBB4_2041
; %bb.1019:                             ;   in Loop: Header=BB4_62 Depth=1
	s_or_saveexec_b64 s[6:7], s[6:7]
	v_mov_b32_e32 v2, s10
	s_xor_b64 exec, exec, s[6:7]
	s_cbranch_execnz .LBB4_2044
.LBB4_1020:                             ;   in Loop: Header=BB4_62 Depth=1
	s_or_b64 exec, exec, s[6:7]
	s_and_saveexec_b64 s[6:7], s[4:5]
	s_cbranch_execz .LBB4_1022
.LBB4_1021:                             ;   in Loop: Header=BB4_62 Depth=1
	v_and_b32_e32 v2, 7, v96
	v_ffbh_u32_e32 v5, v2
	v_min_u32_e32 v5, 32, v5
	v_lshrrev_b16_e32 v4, 3, v96
	v_subrev_u32_e32 v6, 28, v5
	v_and_b32_e32 v4, 15, v4
	v_lshlrev_b32_e32 v6, v6, v2
	v_sub_u32_e32 v5, 29, v5
	v_and_b32_e32 v6, 7, v6
	v_cmp_eq_u16_e32 vcc, 0, v4
	v_lshrrev_b16_e32 v3, 7, v96
	v_cndmask_b32_e32 v2, v2, v6, vcc
	v_cndmask_b32_e32 v4, v4, v5, vcc
	v_lshlrev_b32_e32 v2, 20, v2
	v_lshlrev_b32_e32 v3, 31, v3
	v_lshl_add_u32 v4, v4, 23, v126
	v_or3_b32 v2, v3, v4, v2
.LBB4_1022:                             ;   in Loop: Header=BB4_62 Depth=1
	s_or_b64 exec, exec, s[6:7]
	v_cmp_gt_i16_sdwa s[6:7], v96, s24 src0_sel:BYTE_1 src1_sel:DWORD
	s_mov_b64 s[4:5], 0
                                        ; implicit-def: $sgpr10
	s_and_saveexec_b64 s[8:9], s[6:7]
	s_xor_b64 s[6:7], exec, s[8:9]
	s_cbranch_execnz .LBB4_2045
; %bb.1023:                             ;   in Loop: Header=BB4_62 Depth=1
	s_or_saveexec_b64 s[6:7], s[6:7]
	v_mov_b32_e32 v3, s10
	s_xor_b64 exec, exec, s[6:7]
	s_cbranch_execnz .LBB4_2048
.LBB4_1024:                             ;   in Loop: Header=BB4_62 Depth=1
	s_or_b64 exec, exec, s[6:7]
	s_and_saveexec_b64 s[6:7], s[4:5]
	s_cbranch_execz .LBB4_1026
.LBB4_1025:                             ;   in Loop: Header=BB4_62 Depth=1
	v_and_b32_sdwa v3, v96, v116 dst_sel:DWORD dst_unused:UNUSED_PAD src0_sel:BYTE_1 src1_sel:DWORD
	v_ffbh_u32_e32 v6, v3
	v_min_u32_e32 v6, 32, v6
	v_lshrrev_b16_e32 v5, 11, v96
	v_subrev_u32_e32 v7, 28, v6
	v_and_b32_e32 v5, 15, v5
	v_lshlrev_b32_e32 v7, v7, v3
	v_sub_u32_e32 v6, 29, v6
	v_and_b32_e32 v7, 7, v7
	v_cmp_eq_u16_e32 vcc, 0, v5
	v_lshrrev_b16_e32 v4, 15, v96
	v_cndmask_b32_e32 v3, v3, v7, vcc
	v_cndmask_b32_e32 v5, v5, v6, vcc
	v_lshlrev_b32_e32 v3, 20, v3
	v_lshlrev_b32_e32 v4, 31, v4
	v_lshl_add_u32 v5, v5, 23, v126
	v_or3_b32 v3, v4, v5, v3
.LBB4_1026:                             ;   in Loop: Header=BB4_62 Depth=1
	s_or_b64 exec, exec, s[6:7]
	v_and_b32_sdwa v4, v96, s23 dst_sel:DWORD dst_unused:UNUSED_PAD src0_sel:WORD_1 src1_sel:DWORD
	v_cmp_lt_i16_e32 vcc, s24, v4
	s_mov_b64 s[4:5], 0
                                        ; implicit-def: $sgpr10
	s_and_saveexec_b64 s[6:7], vcc
	s_xor_b64 s[6:7], exec, s[6:7]
	s_cbranch_execnz .LBB4_2049
; %bb.1027:                             ;   in Loop: Header=BB4_62 Depth=1
	s_or_saveexec_b64 s[6:7], s[6:7]
	v_mov_b32_e32 v115, s10
	s_xor_b64 exec, exec, s[6:7]
	s_cbranch_execnz .LBB4_2052
.LBB4_1028:                             ;   in Loop: Header=BB4_62 Depth=1
	s_or_b64 exec, exec, s[6:7]
	s_and_saveexec_b64 s[6:7], s[4:5]
	s_cbranch_execz .LBB4_1030
.LBB4_1029:                             ;   in Loop: Header=BB4_62 Depth=1
	v_and_b32_sdwa v4, v96, v116 dst_sel:DWORD dst_unused:UNUSED_PAD src0_sel:WORD_1 src1_sel:DWORD
	v_ffbh_u32_e32 v7, v4
	v_min_u32_e32 v7, 32, v7
	v_lshrrev_b16_sdwa v6, v117, v96 dst_sel:DWORD dst_unused:UNUSED_PAD src0_sel:DWORD src1_sel:WORD_1
	v_subrev_u32_e32 v8, 28, v7
	v_and_b32_e32 v6, 15, v6
	v_lshlrev_b32_e32 v8, v8, v4
	v_sub_u32_e32 v7, 29, v7
	v_and_b32_e32 v8, 7, v8
	v_cmp_eq_u16_e32 vcc, 0, v6
	v_lshrrev_b16_sdwa v5, v116, v96 dst_sel:DWORD dst_unused:UNUSED_PAD src0_sel:DWORD src1_sel:WORD_1
	v_cndmask_b32_e32 v4, v4, v8, vcc
	v_cndmask_b32_e32 v6, v6, v7, vcc
	v_lshlrev_b32_e32 v4, 20, v4
	v_lshlrev_b32_e32 v5, 31, v5
	v_lshl_add_u32 v6, v6, 23, v126
	v_or3_b32 v115, v5, v6, v4
.LBB4_1030:                             ;   in Loop: Header=BB4_62 Depth=1
	s_or_b64 exec, exec, s[6:7]
	v_lshrrev_b16_sdwa v4, v124, v96 dst_sel:DWORD dst_unused:UNUSED_PAD src0_sel:DWORD src1_sel:WORD_1
	v_cmp_lt_i16_e32 vcc, s24, v4
	s_mov_b64 s[4:5], 0
                                        ; implicit-def: $sgpr10
	s_and_saveexec_b64 s[6:7], vcc
	s_xor_b64 s[6:7], exec, s[6:7]
	s_cbranch_execnz .LBB4_2053
; %bb.1031:                             ;   in Loop: Header=BB4_62 Depth=1
	s_or_saveexec_b64 s[6:7], s[6:7]
	v_mov_b32_e32 v61, s10
	s_xor_b64 exec, exec, s[6:7]
	s_cbranch_execnz .LBB4_2056
.LBB4_1032:                             ;   in Loop: Header=BB4_62 Depth=1
	s_or_b64 exec, exec, s[6:7]
	s_and_saveexec_b64 s[6:7], s[4:5]
	s_cbranch_execz .LBB4_1034
.LBB4_1033:                             ;   in Loop: Header=BB4_62 Depth=1
	v_and_b32_e32 v4, 7, v4
	v_ffbh_u32_e32 v7, v4
	v_min_u32_e32 v7, 32, v7
	v_lshrrev_b16_sdwa v6, v60, v96 dst_sel:DWORD dst_unused:UNUSED_PAD src0_sel:DWORD src1_sel:WORD_1
	v_subrev_u32_e32 v8, 28, v7
	v_and_b32_e32 v6, 15, v6
	v_lshlrev_b32_e32 v8, v8, v4
	v_sub_u32_e32 v7, 29, v7
	v_and_b32_e32 v8, 7, v8
	v_cmp_eq_u16_e32 vcc, 0, v6
	v_lshrrev_b16_sdwa v5, v44, v96 dst_sel:DWORD dst_unused:UNUSED_PAD src0_sel:DWORD src1_sel:WORD_1
	v_cndmask_b32_e32 v4, v4, v8, vcc
	v_cndmask_b32_e32 v6, v6, v7, vcc
	v_lshlrev_b32_e32 v4, 20, v4
	v_lshlrev_b32_e32 v5, 31, v5
	v_lshl_add_u32 v6, v6, 23, v126
	v_or3_b32 v61, v5, v6, v4
.LBB4_1034:                             ;   in Loop: Header=BB4_62 Depth=1
	s_or_b64 exec, exec, s[6:7]
	v_cmp_gt_i16_sdwa s[6:7], v97, s24 src0_sel:BYTE_0 src1_sel:DWORD
	s_mov_b64 s[4:5], 0
                                        ; implicit-def: $sgpr10
	s_and_saveexec_b64 s[8:9], s[6:7]
	s_xor_b64 s[6:7], exec, s[8:9]
	s_cbranch_execnz .LBB4_2057
; %bb.1035:                             ;   in Loop: Header=BB4_62 Depth=1
	s_or_saveexec_b64 s[6:7], s[6:7]
	v_mov_b32_e32 v96, s10
	s_xor_b64 exec, exec, s[6:7]
	s_cbranch_execnz .LBB4_2060
.LBB4_1036:                             ;   in Loop: Header=BB4_62 Depth=1
	s_or_b64 exec, exec, s[6:7]
	s_and_saveexec_b64 s[6:7], s[4:5]
	s_cbranch_execz .LBB4_1038
.LBB4_1037:                             ;   in Loop: Header=BB4_62 Depth=1
	v_and_b32_e32 v4, 7, v97
	v_ffbh_u32_e32 v7, v4
	v_min_u32_e32 v7, 32, v7
	v_lshrrev_b16_e32 v6, 3, v97
	v_subrev_u32_e32 v8, 28, v7
	v_and_b32_e32 v6, 15, v6
	v_lshlrev_b32_e32 v8, v8, v4
	v_sub_u32_e32 v7, 29, v7
	v_and_b32_e32 v8, 7, v8
	v_cmp_eq_u16_e32 vcc, 0, v6
	v_lshrrev_b16_e32 v5, 7, v97
	v_cndmask_b32_e32 v4, v4, v8, vcc
	v_cndmask_b32_e32 v6, v6, v7, vcc
	v_lshlrev_b32_e32 v4, 20, v4
	v_lshlrev_b32_e32 v5, 31, v5
	v_lshl_add_u32 v6, v6, 23, v126
	v_or3_b32 v96, v5, v6, v4
.LBB4_1038:                             ;   in Loop: Header=BB4_62 Depth=1
	s_or_b64 exec, exec, s[6:7]
	v_cmp_gt_i16_sdwa s[6:7], v97, s24 src0_sel:BYTE_1 src1_sel:DWORD
	s_mov_b64 s[4:5], 0
                                        ; implicit-def: $sgpr10
	s_and_saveexec_b64 s[8:9], s[6:7]
	s_xor_b64 s[6:7], exec, s[8:9]
	s_cbranch_execnz .LBB4_2061
; %bb.1039:                             ;   in Loop: Header=BB4_62 Depth=1
	s_or_saveexec_b64 s[6:7], s[6:7]
	v_mov_b32_e32 v77, s10
	s_xor_b64 exec, exec, s[6:7]
	s_cbranch_execnz .LBB4_2064
.LBB4_1040:                             ;   in Loop: Header=BB4_62 Depth=1
	s_or_b64 exec, exec, s[6:7]
	s_and_saveexec_b64 s[6:7], s[4:5]
	s_cbranch_execz .LBB4_1042
.LBB4_1041:                             ;   in Loop: Header=BB4_62 Depth=1
	v_and_b32_sdwa v4, v97, v116 dst_sel:DWORD dst_unused:UNUSED_PAD src0_sel:BYTE_1 src1_sel:DWORD
	v_ffbh_u32_e32 v7, v4
	v_min_u32_e32 v7, 32, v7
	v_lshrrev_b16_e32 v6, 11, v97
	v_subrev_u32_e32 v8, 28, v7
	v_and_b32_e32 v6, 15, v6
	v_lshlrev_b32_e32 v8, v8, v4
	v_sub_u32_e32 v7, 29, v7
	v_and_b32_e32 v8, 7, v8
	v_cmp_eq_u16_e32 vcc, 0, v6
	v_lshrrev_b16_e32 v5, 15, v97
	v_cndmask_b32_e32 v4, v4, v8, vcc
	v_cndmask_b32_e32 v6, v6, v7, vcc
	v_lshlrev_b32_e32 v4, 20, v4
	v_lshlrev_b32_e32 v5, 31, v5
	v_lshl_add_u32 v6, v6, 23, v126
	v_or3_b32 v77, v5, v6, v4
.LBB4_1042:                             ;   in Loop: Header=BB4_62 Depth=1
	s_or_b64 exec, exec, s[6:7]
	v_and_b32_sdwa v4, v97, s23 dst_sel:DWORD dst_unused:UNUSED_PAD src0_sel:WORD_1 src1_sel:DWORD
	v_cmp_lt_i16_e32 vcc, s24, v4
	s_mov_b64 s[4:5], 0
                                        ; implicit-def: $sgpr10
	s_and_saveexec_b64 s[6:7], vcc
	s_xor_b64 s[6:7], exec, s[6:7]
	s_cbranch_execnz .LBB4_2065
; %bb.1043:                             ;   in Loop: Header=BB4_62 Depth=1
	s_or_saveexec_b64 s[6:7], s[6:7]
	v_mov_b32_e32 v121, s10
	s_xor_b64 exec, exec, s[6:7]
	s_cbranch_execnz .LBB4_2068
.LBB4_1044:                             ;   in Loop: Header=BB4_62 Depth=1
	s_or_b64 exec, exec, s[6:7]
	s_and_saveexec_b64 s[6:7], s[4:5]
	s_cbranch_execz .LBB4_1046
.LBB4_1045:                             ;   in Loop: Header=BB4_62 Depth=1
	v_and_b32_sdwa v4, v97, v116 dst_sel:DWORD dst_unused:UNUSED_PAD src0_sel:WORD_1 src1_sel:DWORD
	v_ffbh_u32_e32 v7, v4
	v_min_u32_e32 v7, 32, v7
	v_lshrrev_b16_sdwa v6, v117, v97 dst_sel:DWORD dst_unused:UNUSED_PAD src0_sel:DWORD src1_sel:WORD_1
	v_subrev_u32_e32 v8, 28, v7
	v_and_b32_e32 v6, 15, v6
	v_lshlrev_b32_e32 v8, v8, v4
	v_sub_u32_e32 v7, 29, v7
	v_and_b32_e32 v8, 7, v8
	v_cmp_eq_u16_e32 vcc, 0, v6
	v_lshrrev_b16_sdwa v5, v116, v97 dst_sel:DWORD dst_unused:UNUSED_PAD src0_sel:DWORD src1_sel:WORD_1
	v_cndmask_b32_e32 v4, v4, v8, vcc
	v_cndmask_b32_e32 v6, v6, v7, vcc
	v_lshlrev_b32_e32 v4, 20, v4
	v_lshlrev_b32_e32 v5, 31, v5
	v_lshl_add_u32 v6, v6, 23, v126
	v_or3_b32 v121, v5, v6, v4
.LBB4_1046:                             ;   in Loop: Header=BB4_62 Depth=1
	s_or_b64 exec, exec, s[6:7]
	v_lshrrev_b16_sdwa v4, v124, v97 dst_sel:DWORD dst_unused:UNUSED_PAD src0_sel:DWORD src1_sel:WORD_1
	v_cmp_lt_i16_e32 vcc, s24, v4
	s_mov_b64 s[4:5], 0
                                        ; implicit-def: $sgpr10
	s_and_saveexec_b64 s[6:7], vcc
	s_xor_b64 s[6:7], exec, s[6:7]
	s_cbranch_execnz .LBB4_2069
; %bb.1047:                             ;   in Loop: Header=BB4_62 Depth=1
	s_or_saveexec_b64 s[6:7], s[6:7]
	v_mov_b32_e32 v122, s10
	s_xor_b64 exec, exec, s[6:7]
	s_cbranch_execnz .LBB4_2072
.LBB4_1048:                             ;   in Loop: Header=BB4_62 Depth=1
	s_or_b64 exec, exec, s[6:7]
	s_and_saveexec_b64 s[6:7], s[4:5]
	s_cbranch_execz .LBB4_1050
.LBB4_1049:                             ;   in Loop: Header=BB4_62 Depth=1
	v_and_b32_e32 v4, 7, v4
	v_ffbh_u32_e32 v7, v4
	v_min_u32_e32 v7, 32, v7
	v_lshrrev_b16_sdwa v6, v60, v97 dst_sel:DWORD dst_unused:UNUSED_PAD src0_sel:DWORD src1_sel:WORD_1
	v_subrev_u32_e32 v8, 28, v7
	v_and_b32_e32 v6, 15, v6
	v_lshlrev_b32_e32 v8, v8, v4
	v_sub_u32_e32 v7, 29, v7
	v_and_b32_e32 v8, 7, v8
	v_cmp_eq_u16_e32 vcc, 0, v6
	v_lshrrev_b16_sdwa v5, v44, v97 dst_sel:DWORD dst_unused:UNUSED_PAD src0_sel:DWORD src1_sel:WORD_1
	v_cndmask_b32_e32 v4, v4, v8, vcc
	v_cndmask_b32_e32 v6, v6, v7, vcc
	v_lshlrev_b32_e32 v4, 20, v4
	v_lshlrev_b32_e32 v5, 31, v5
	v_lshl_add_u32 v6, v6, 23, v126
	v_or3_b32 v122, v5, v6, v4
.LBB4_1050:                             ;   in Loop: Header=BB4_62 Depth=1
	s_or_b64 exec, exec, s[6:7]
	v_cmp_gt_i16_sdwa s[6:7], v98, s24 src0_sel:BYTE_0 src1_sel:DWORD
	s_mov_b64 s[4:5], 0
                                        ; implicit-def: $sgpr10
	s_and_saveexec_b64 s[8:9], s[6:7]
	s_xor_b64 s[6:7], exec, s[8:9]
	s_cbranch_execnz .LBB4_2073
; %bb.1051:                             ;   in Loop: Header=BB4_62 Depth=1
	s_or_saveexec_b64 s[6:7], s[6:7]
	v_mov_b32_e32 v97, s10
	s_xor_b64 exec, exec, s[6:7]
	s_cbranch_execnz .LBB4_2076
.LBB4_1052:                             ;   in Loop: Header=BB4_62 Depth=1
	s_or_b64 exec, exec, s[6:7]
	s_and_saveexec_b64 s[6:7], s[4:5]
	s_cbranch_execz .LBB4_1054
.LBB4_1053:                             ;   in Loop: Header=BB4_62 Depth=1
	v_and_b32_e32 v4, 7, v98
	v_ffbh_u32_e32 v7, v4
	v_min_u32_e32 v7, 32, v7
	v_lshrrev_b16_e32 v6, 3, v98
	v_subrev_u32_e32 v8, 28, v7
	v_and_b32_e32 v6, 15, v6
	v_lshlrev_b32_e32 v8, v8, v4
	v_sub_u32_e32 v7, 29, v7
	v_and_b32_e32 v8, 7, v8
	v_cmp_eq_u16_e32 vcc, 0, v6
	v_lshrrev_b16_e32 v5, 7, v98
	v_cndmask_b32_e32 v4, v4, v8, vcc
	v_cndmask_b32_e32 v6, v6, v7, vcc
	v_lshlrev_b32_e32 v4, 20, v4
	v_lshlrev_b32_e32 v5, 31, v5
	v_lshl_add_u32 v6, v6, 23, v126
	v_or3_b32 v97, v5, v6, v4
.LBB4_1054:                             ;   in Loop: Header=BB4_62 Depth=1
	s_or_b64 exec, exec, s[6:7]
	v_cmp_gt_i16_sdwa s[6:7], v98, s24 src0_sel:BYTE_1 src1_sel:DWORD
	s_mov_b64 s[4:5], 0
                                        ; implicit-def: $sgpr10
	s_and_saveexec_b64 s[8:9], s[6:7]
	s_xor_b64 s[6:7], exec, s[8:9]
	s_cbranch_execnz .LBB4_2077
; %bb.1055:                             ;   in Loop: Header=BB4_62 Depth=1
	s_or_saveexec_b64 s[6:7], s[6:7]
	v_mov_b32_e32 v123, s10
	s_xor_b64 exec, exec, s[6:7]
	s_cbranch_execnz .LBB4_2080
.LBB4_1056:                             ;   in Loop: Header=BB4_62 Depth=1
	s_or_b64 exec, exec, s[6:7]
	s_and_saveexec_b64 s[6:7], s[4:5]
	s_cbranch_execz .LBB4_1058
.LBB4_1057:                             ;   in Loop: Header=BB4_62 Depth=1
	v_and_b32_sdwa v4, v98, v116 dst_sel:DWORD dst_unused:UNUSED_PAD src0_sel:BYTE_1 src1_sel:DWORD
	v_ffbh_u32_e32 v7, v4
	v_min_u32_e32 v7, 32, v7
	v_lshrrev_b16_e32 v6, 11, v98
	v_subrev_u32_e32 v8, 28, v7
	v_and_b32_e32 v6, 15, v6
	v_lshlrev_b32_e32 v8, v8, v4
	v_sub_u32_e32 v7, 29, v7
	v_and_b32_e32 v8, 7, v8
	v_cmp_eq_u16_e32 vcc, 0, v6
	v_lshrrev_b16_e32 v5, 15, v98
	v_cndmask_b32_e32 v4, v4, v8, vcc
	v_cndmask_b32_e32 v6, v6, v7, vcc
	v_lshlrev_b32_e32 v4, 20, v4
	v_lshlrev_b32_e32 v5, 31, v5
	v_lshl_add_u32 v6, v6, 23, v126
	v_or3_b32 v123, v5, v6, v4
.LBB4_1058:                             ;   in Loop: Header=BB4_62 Depth=1
	s_or_b64 exec, exec, s[6:7]
	v_and_b32_sdwa v5, v98, s23 dst_sel:DWORD dst_unused:UNUSED_PAD src0_sel:WORD_1 src1_sel:DWORD
	v_cmp_lt_i16_e32 vcc, s24, v5
	s_mov_b64 s[4:5], 0
                                        ; implicit-def: $sgpr10
	s_and_saveexec_b64 s[6:7], vcc
	s_xor_b64 s[6:7], exec, s[6:7]
	s_cbranch_execnz .LBB4_2081
; %bb.1059:                             ;   in Loop: Header=BB4_62 Depth=1
	s_or_saveexec_b64 s[6:7], s[6:7]
	v_mov_b32_e32 v4, s10
	s_xor_b64 exec, exec, s[6:7]
	s_cbranch_execnz .LBB4_2084
.LBB4_1060:                             ;   in Loop: Header=BB4_62 Depth=1
	s_or_b64 exec, exec, s[6:7]
	s_and_saveexec_b64 s[6:7], s[4:5]
	s_cbranch_execz .LBB4_1062
.LBB4_1061:                             ;   in Loop: Header=BB4_62 Depth=1
	v_and_b32_sdwa v4, v98, v116 dst_sel:DWORD dst_unused:UNUSED_PAD src0_sel:WORD_1 src1_sel:DWORD
	v_ffbh_u32_e32 v7, v4
	v_min_u32_e32 v7, 32, v7
	v_lshrrev_b16_sdwa v6, v117, v98 dst_sel:DWORD dst_unused:UNUSED_PAD src0_sel:DWORD src1_sel:WORD_1
	v_subrev_u32_e32 v8, 28, v7
	v_and_b32_e32 v6, 15, v6
	v_lshlrev_b32_e32 v8, v8, v4
	v_sub_u32_e32 v7, 29, v7
	v_and_b32_e32 v8, 7, v8
	v_cmp_eq_u16_e32 vcc, 0, v6
	v_lshrrev_b16_sdwa v5, v116, v98 dst_sel:DWORD dst_unused:UNUSED_PAD src0_sel:DWORD src1_sel:WORD_1
	v_cndmask_b32_e32 v4, v4, v8, vcc
	v_cndmask_b32_e32 v6, v6, v7, vcc
	v_lshlrev_b32_e32 v4, 20, v4
	v_lshlrev_b32_e32 v5, 31, v5
	v_lshl_add_u32 v6, v6, 23, v126
	v_or3_b32 v4, v5, v6, v4
.LBB4_1062:                             ;   in Loop: Header=BB4_62 Depth=1
	s_or_b64 exec, exec, s[6:7]
	v_lshrrev_b16_sdwa v6, v124, v98 dst_sel:DWORD dst_unused:UNUSED_PAD src0_sel:DWORD src1_sel:WORD_1
	v_cmp_lt_i16_e32 vcc, s24, v6
	s_mov_b64 s[4:5], 0
                                        ; implicit-def: $sgpr10
	s_and_saveexec_b64 s[6:7], vcc
	s_xor_b64 s[6:7], exec, s[6:7]
	s_cbranch_execnz .LBB4_2085
; %bb.1063:                             ;   in Loop: Header=BB4_62 Depth=1
	s_or_saveexec_b64 s[6:7], s[6:7]
	v_mov_b32_e32 v5, s10
	s_xor_b64 exec, exec, s[6:7]
	s_cbranch_execnz .LBB4_2088
.LBB4_1064:                             ;   in Loop: Header=BB4_62 Depth=1
	s_or_b64 exec, exec, s[6:7]
	s_and_saveexec_b64 s[6:7], s[4:5]
	s_cbranch_execz .LBB4_1066
.LBB4_1065:                             ;   in Loop: Header=BB4_62 Depth=1
	v_and_b32_e32 v5, 7, v6
	v_ffbh_u32_e32 v8, v5
	v_min_u32_e32 v8, 32, v8
	v_lshrrev_b16_sdwa v7, v60, v98 dst_sel:DWORD dst_unused:UNUSED_PAD src0_sel:DWORD src1_sel:WORD_1
	v_subrev_u32_e32 v9, 28, v8
	v_and_b32_e32 v7, 15, v7
	v_lshlrev_b32_e32 v9, v9, v5
	v_sub_u32_e32 v8, 29, v8
	v_and_b32_e32 v9, 7, v9
	v_cmp_eq_u16_e32 vcc, 0, v7
	v_lshrrev_b16_sdwa v6, v44, v98 dst_sel:DWORD dst_unused:UNUSED_PAD src0_sel:DWORD src1_sel:WORD_1
	v_cndmask_b32_e32 v5, v5, v9, vcc
	v_cndmask_b32_e32 v7, v7, v8, vcc
	v_lshlrev_b32_e32 v5, 20, v5
	v_lshlrev_b32_e32 v6, 31, v6
	v_lshl_add_u32 v7, v7, 23, v126
	v_or3_b32 v5, v6, v7, v5
.LBB4_1066:                             ;   in Loop: Header=BB4_62 Depth=1
	s_or_b64 exec, exec, s[6:7]
	v_cmp_gt_i16_sdwa s[6:7], v99, s24 src0_sel:BYTE_0 src1_sel:DWORD
	s_mov_b64 s[4:5], 0
                                        ; implicit-def: $sgpr10
	s_and_saveexec_b64 s[8:9], s[6:7]
	s_xor_b64 s[6:7], exec, s[8:9]
	s_cbranch_execnz .LBB4_2089
; %bb.1067:                             ;   in Loop: Header=BB4_62 Depth=1
	s_or_saveexec_b64 s[6:7], s[6:7]
	v_mov_b32_e32 v6, s10
	s_xor_b64 exec, exec, s[6:7]
	s_cbranch_execnz .LBB4_2092
.LBB4_1068:                             ;   in Loop: Header=BB4_62 Depth=1
	s_or_b64 exec, exec, s[6:7]
	s_and_saveexec_b64 s[6:7], s[4:5]
	s_cbranch_execz .LBB4_1070
.LBB4_1069:                             ;   in Loop: Header=BB4_62 Depth=1
	v_and_b32_e32 v6, 7, v99
	v_ffbh_u32_e32 v9, v6
	v_min_u32_e32 v9, 32, v9
	v_lshrrev_b16_e32 v8, 3, v99
	v_subrev_u32_e32 v10, 28, v9
	v_and_b32_e32 v8, 15, v8
	v_lshlrev_b32_e32 v10, v10, v6
	v_sub_u32_e32 v9, 29, v9
	v_and_b32_e32 v10, 7, v10
	v_cmp_eq_u16_e32 vcc, 0, v8
	v_lshrrev_b16_e32 v7, 7, v99
	v_cndmask_b32_e32 v6, v6, v10, vcc
	v_cndmask_b32_e32 v8, v8, v9, vcc
	v_lshlrev_b32_e32 v6, 20, v6
	v_lshlrev_b32_e32 v7, 31, v7
	v_lshl_add_u32 v8, v8, 23, v126
	v_or3_b32 v6, v7, v8, v6
.LBB4_1070:                             ;   in Loop: Header=BB4_62 Depth=1
	s_or_b64 exec, exec, s[6:7]
	v_cmp_gt_i16_sdwa s[6:7], v99, s24 src0_sel:BYTE_1 src1_sel:DWORD
	s_mov_b64 s[4:5], 0
                                        ; implicit-def: $sgpr10
	s_and_saveexec_b64 s[8:9], s[6:7]
	s_xor_b64 s[6:7], exec, s[8:9]
	s_cbranch_execnz .LBB4_2093
; %bb.1071:                             ;   in Loop: Header=BB4_62 Depth=1
	s_or_saveexec_b64 s[6:7], s[6:7]
	v_mov_b32_e32 v7, s10
	s_xor_b64 exec, exec, s[6:7]
	s_cbranch_execnz .LBB4_2096
.LBB4_1072:                             ;   in Loop: Header=BB4_62 Depth=1
	s_or_b64 exec, exec, s[6:7]
	s_and_saveexec_b64 s[6:7], s[4:5]
	s_cbranch_execz .LBB4_1074
.LBB4_1073:                             ;   in Loop: Header=BB4_62 Depth=1
	v_and_b32_sdwa v7, v99, v116 dst_sel:DWORD dst_unused:UNUSED_PAD src0_sel:BYTE_1 src1_sel:DWORD
	v_ffbh_u32_e32 v10, v7
	v_min_u32_e32 v10, 32, v10
	v_lshrrev_b16_e32 v9, 11, v99
	v_subrev_u32_e32 v11, 28, v10
	v_and_b32_e32 v9, 15, v9
	v_lshlrev_b32_e32 v11, v11, v7
	v_sub_u32_e32 v10, 29, v10
	v_and_b32_e32 v11, 7, v11
	v_cmp_eq_u16_e32 vcc, 0, v9
	v_lshrrev_b16_e32 v8, 15, v99
	v_cndmask_b32_e32 v7, v7, v11, vcc
	v_cndmask_b32_e32 v9, v9, v10, vcc
	v_lshlrev_b32_e32 v7, 20, v7
	v_lshlrev_b32_e32 v8, 31, v8
	v_lshl_add_u32 v9, v9, 23, v126
	v_or3_b32 v7, v8, v9, v7
.LBB4_1074:                             ;   in Loop: Header=BB4_62 Depth=1
	s_or_b64 exec, exec, s[6:7]
	v_and_b32_sdwa v8, v99, s23 dst_sel:DWORD dst_unused:UNUSED_PAD src0_sel:WORD_1 src1_sel:DWORD
	v_cmp_lt_i16_e32 vcc, s24, v8
	s_mov_b64 s[4:5], 0
                                        ; implicit-def: $sgpr10
	s_and_saveexec_b64 s[6:7], vcc
	s_xor_b64 s[6:7], exec, s[6:7]
	s_cbranch_execnz .LBB4_2097
; %bb.1075:                             ;   in Loop: Header=BB4_62 Depth=1
	s_or_saveexec_b64 s[6:7], s[6:7]
	v_mov_b32_e32 v98, s10
	s_xor_b64 exec, exec, s[6:7]
	s_cbranch_execnz .LBB4_2100
.LBB4_1076:                             ;   in Loop: Header=BB4_62 Depth=1
	s_or_b64 exec, exec, s[6:7]
	s_and_saveexec_b64 s[6:7], s[4:5]
	s_cbranch_execz .LBB4_1078
.LBB4_1077:                             ;   in Loop: Header=BB4_62 Depth=1
	v_and_b32_sdwa v8, v99, v116 dst_sel:DWORD dst_unused:UNUSED_PAD src0_sel:WORD_1 src1_sel:DWORD
	v_ffbh_u32_e32 v11, v8
	v_min_u32_e32 v11, 32, v11
	v_lshrrev_b16_sdwa v10, v117, v99 dst_sel:DWORD dst_unused:UNUSED_PAD src0_sel:DWORD src1_sel:WORD_1
	v_subrev_u32_e32 v98, 28, v11
	v_and_b32_e32 v10, 15, v10
	v_lshlrev_b32_e32 v98, v98, v8
	v_sub_u32_e32 v11, 29, v11
	v_and_b32_e32 v98, 7, v98
	v_cmp_eq_u16_e32 vcc, 0, v10
	v_lshrrev_b16_sdwa v9, v116, v99 dst_sel:DWORD dst_unused:UNUSED_PAD src0_sel:DWORD src1_sel:WORD_1
	v_cndmask_b32_e32 v8, v8, v98, vcc
	v_cndmask_b32_e32 v10, v10, v11, vcc
	v_lshlrev_b32_e32 v8, 20, v8
	v_lshlrev_b32_e32 v9, 31, v9
	v_lshl_add_u32 v10, v10, 23, v126
	v_or3_b32 v98, v9, v10, v8
.LBB4_1078:                             ;   in Loop: Header=BB4_62 Depth=1
	s_or_b64 exec, exec, s[6:7]
	v_lshrrev_b16_sdwa v76, v124, v99 dst_sel:DWORD dst_unused:UNUSED_PAD src0_sel:DWORD src1_sel:WORD_1
	v_cmp_lt_i16_e32 vcc, s24, v76
	s_mov_b64 s[4:5], 0
                                        ; implicit-def: $sgpr10
	s_and_saveexec_b64 s[6:7], vcc
	s_xor_b64 s[6:7], exec, s[6:7]
	s_cbranch_execnz .LBB4_2101
; %bb.1079:                             ;   in Loop: Header=BB4_62 Depth=1
	s_or_saveexec_b64 s[6:7], s[6:7]
	v_mov_b32_e32 v8, s10
	s_xor_b64 exec, exec, s[6:7]
	s_cbranch_execnz .LBB4_2104
.LBB4_1080:                             ;   in Loop: Header=BB4_62 Depth=1
	s_or_b64 exec, exec, s[6:7]
	s_and_saveexec_b64 s[6:7], s[4:5]
	s_cbranch_execz .LBB4_1082
.LBB4_1081:                             ;   in Loop: Header=BB4_62 Depth=1
	v_and_b32_e32 v8, 7, v76
	v_ffbh_u32_e32 v11, v8
	v_min_u32_e32 v11, 32, v11
	v_lshrrev_b16_sdwa v9, v44, v99 dst_sel:DWORD dst_unused:UNUSED_PAD src0_sel:DWORD src1_sel:WORD_1
	v_lshrrev_b16_sdwa v10, v60, v99 dst_sel:DWORD dst_unused:UNUSED_PAD src0_sel:DWORD src1_sel:WORD_1
	v_subrev_u32_e32 v99, 28, v11
	v_and_b32_e32 v10, 15, v10
	v_lshlrev_b32_e32 v99, v99, v8
	v_sub_u32_e32 v11, 29, v11
	v_and_b32_e32 v99, 7, v99
	v_cmp_eq_u16_e32 vcc, 0, v10
	v_cndmask_b32_e32 v8, v8, v99, vcc
	v_cndmask_b32_e32 v10, v10, v11, vcc
	v_lshlrev_b32_e32 v8, 20, v8
	v_lshlrev_b32_e32 v9, 31, v9
	v_lshl_add_u32 v10, v10, 23, v126
	v_or3_b32 v8, v9, v10, v8
.LBB4_1082:                             ;   in Loop: Header=BB4_62 Depth=1
	s_or_b64 exec, exec, s[6:7]
	v_add_u32_e32 v0, v63, v0
	v_xor_b32_e32 v0, v75, v0
	v_sub_u32_e32 v0, v0, v74
	v_lshlrev_b32_e32 v0, 4, v0
	v_add3_u32 v0, v0, v114, v1
	v_cvt_pkrtz_f16_f32 v111, v115, v61
	v_ashrrev_i32_e32 v1, 31, v0
	v_add_co_u32_e32 v0, vcc, v72, v0
	v_cvt_pkrtz_f16_f32 v76, v6, v7
	v_cvt_pkrtz_f16_f32 v110, v2, v3
	;; [unrolled: 1-line block ×7, first 2 shown]
	buffer_store_dword v111, off, s[0:3], s33 offset:196
	buffer_store_dword v110, off, s[0:3], s33 offset:192
	;; [unrolled: 1-line block ×8, first 2 shown]
	v_addc_co_u32_e32 v1, vcc, v73, v1, vcc
	flat_load_dwordx4 v[96:99], v[0:1]
	s_mov_b64 s[4:5], 0
                                        ; implicit-def: $sgpr10
	s_waitcnt vmcnt(0) lgkmcnt(0)
	v_cmp_gt_i16_sdwa s[6:7], v96, s24 src0_sel:BYTE_0 src1_sel:DWORD
	s_and_saveexec_b64 s[8:9], s[6:7]
	s_xor_b64 s[6:7], exec, s[8:9]
	s_cbranch_execnz .LBB4_2105
; %bb.1083:                             ;   in Loop: Header=BB4_62 Depth=1
	s_or_saveexec_b64 s[6:7], s[6:7]
	v_mov_b32_e32 v0, s10
	s_xor_b64 exec, exec, s[6:7]
	s_cbranch_execnz .LBB4_2108
.LBB4_1084:                             ;   in Loop: Header=BB4_62 Depth=1
	s_or_b64 exec, exec, s[6:7]
	s_and_saveexec_b64 s[6:7], s[4:5]
	s_cbranch_execz .LBB4_1086
.LBB4_1085:                             ;   in Loop: Header=BB4_62 Depth=1
	v_and_b32_e32 v0, 7, v96
	v_ffbh_u32_e32 v3, v0
	v_min_u32_e32 v3, 32, v3
	v_lshrrev_b16_e32 v2, 3, v96
	v_subrev_u32_e32 v4, 28, v3
	v_and_b32_e32 v2, 15, v2
	v_lshlrev_b32_e32 v4, v4, v0
	v_sub_u32_e32 v3, 29, v3
	v_and_b32_e32 v4, 7, v4
	v_cmp_eq_u16_e32 vcc, 0, v2
	v_lshrrev_b16_e32 v1, 7, v96
	v_cndmask_b32_e32 v0, v0, v4, vcc
	v_cndmask_b32_e32 v2, v2, v3, vcc
	v_lshlrev_b32_e32 v0, 20, v0
	v_lshlrev_b32_e32 v1, 31, v1
	v_lshl_add_u32 v2, v2, 23, v126
	v_or3_b32 v0, v1, v2, v0
.LBB4_1086:                             ;   in Loop: Header=BB4_62 Depth=1
	s_or_b64 exec, exec, s[6:7]
	v_cmp_gt_i16_sdwa s[6:7], v96, s24 src0_sel:BYTE_1 src1_sel:DWORD
	s_mov_b64 s[4:5], 0
                                        ; implicit-def: $sgpr10
	s_and_saveexec_b64 s[8:9], s[6:7]
	s_xor_b64 s[6:7], exec, s[8:9]
	s_cbranch_execnz .LBB4_2109
; %bb.1087:                             ;   in Loop: Header=BB4_62 Depth=1
	s_or_saveexec_b64 s[6:7], s[6:7]
	v_mov_b32_e32 v1, s10
	s_xor_b64 exec, exec, s[6:7]
	s_cbranch_execnz .LBB4_2112
.LBB4_1088:                             ;   in Loop: Header=BB4_62 Depth=1
	s_or_b64 exec, exec, s[6:7]
	s_and_saveexec_b64 s[6:7], s[4:5]
	s_cbranch_execz .LBB4_1090
.LBB4_1089:                             ;   in Loop: Header=BB4_62 Depth=1
	v_and_b32_sdwa v1, v96, v116 dst_sel:DWORD dst_unused:UNUSED_PAD src0_sel:BYTE_1 src1_sel:DWORD
	v_ffbh_u32_e32 v4, v1
	v_min_u32_e32 v4, 32, v4
	v_lshrrev_b16_e32 v3, 11, v96
	v_subrev_u32_e32 v5, 28, v4
	v_and_b32_e32 v3, 15, v3
	v_lshlrev_b32_e32 v5, v5, v1
	v_sub_u32_e32 v4, 29, v4
	v_and_b32_e32 v5, 7, v5
	v_cmp_eq_u16_e32 vcc, 0, v3
	v_lshrrev_b16_e32 v2, 15, v96
	v_cndmask_b32_e32 v1, v1, v5, vcc
	v_cndmask_b32_e32 v3, v3, v4, vcc
	v_lshlrev_b32_e32 v1, 20, v1
	v_lshlrev_b32_e32 v2, 31, v2
	v_lshl_add_u32 v3, v3, 23, v126
	v_or3_b32 v1, v2, v3, v1
.LBB4_1090:                             ;   in Loop: Header=BB4_62 Depth=1
	s_or_b64 exec, exec, s[6:7]
	v_and_b32_sdwa v3, v96, s23 dst_sel:DWORD dst_unused:UNUSED_PAD src0_sel:WORD_1 src1_sel:DWORD
	v_cmp_lt_i16_e32 vcc, s24, v3
	s_mov_b64 s[4:5], 0
                                        ; implicit-def: $sgpr10
	s_and_saveexec_b64 s[6:7], vcc
	s_xor_b64 s[6:7], exec, s[6:7]
	s_cbranch_execnz .LBB4_2113
; %bb.1091:                             ;   in Loop: Header=BB4_62 Depth=1
	s_or_saveexec_b64 s[6:7], s[6:7]
	v_mov_b32_e32 v2, s10
	s_xor_b64 exec, exec, s[6:7]
	s_cbranch_execnz .LBB4_2116
.LBB4_1092:                             ;   in Loop: Header=BB4_62 Depth=1
	s_or_b64 exec, exec, s[6:7]
	s_and_saveexec_b64 s[6:7], s[4:5]
	s_cbranch_execz .LBB4_1094
.LBB4_1093:                             ;   in Loop: Header=BB4_62 Depth=1
	v_and_b32_sdwa v2, v96, v116 dst_sel:DWORD dst_unused:UNUSED_PAD src0_sel:WORD_1 src1_sel:DWORD
	v_ffbh_u32_e32 v5, v2
	v_min_u32_e32 v5, 32, v5
	v_lshrrev_b16_sdwa v4, v117, v96 dst_sel:DWORD dst_unused:UNUSED_PAD src0_sel:DWORD src1_sel:WORD_1
	v_subrev_u32_e32 v6, 28, v5
	v_and_b32_e32 v4, 15, v4
	v_lshlrev_b32_e32 v6, v6, v2
	v_sub_u32_e32 v5, 29, v5
	v_and_b32_e32 v6, 7, v6
	v_cmp_eq_u16_e32 vcc, 0, v4
	v_lshrrev_b16_sdwa v3, v116, v96 dst_sel:DWORD dst_unused:UNUSED_PAD src0_sel:DWORD src1_sel:WORD_1
	v_cndmask_b32_e32 v2, v2, v6, vcc
	v_cndmask_b32_e32 v4, v4, v5, vcc
	v_lshlrev_b32_e32 v2, 20, v2
	v_lshlrev_b32_e32 v3, 31, v3
	v_lshl_add_u32 v4, v4, 23, v126
	v_or3_b32 v2, v3, v4, v2
.LBB4_1094:                             ;   in Loop: Header=BB4_62 Depth=1
	s_or_b64 exec, exec, s[6:7]
	v_lshrrev_b16_sdwa v4, v124, v96 dst_sel:DWORD dst_unused:UNUSED_PAD src0_sel:DWORD src1_sel:WORD_1
	v_cmp_lt_i16_e32 vcc, s24, v4
	s_mov_b64 s[4:5], 0
                                        ; implicit-def: $sgpr10
	s_and_saveexec_b64 s[6:7], vcc
	s_xor_b64 s[6:7], exec, s[6:7]
	s_cbranch_execnz .LBB4_2117
; %bb.1095:                             ;   in Loop: Header=BB4_62 Depth=1
	s_or_saveexec_b64 s[6:7], s[6:7]
	v_mov_b32_e32 v3, s10
	s_xor_b64 exec, exec, s[6:7]
	s_cbranch_execnz .LBB4_2120
.LBB4_1096:                             ;   in Loop: Header=BB4_62 Depth=1
	s_or_b64 exec, exec, s[6:7]
	s_and_saveexec_b64 s[6:7], s[4:5]
	s_cbranch_execz .LBB4_1098
.LBB4_1097:                             ;   in Loop: Header=BB4_62 Depth=1
	v_and_b32_e32 v3, 7, v4
	v_ffbh_u32_e32 v6, v3
	v_min_u32_e32 v6, 32, v6
	v_lshrrev_b16_sdwa v5, v60, v96 dst_sel:DWORD dst_unused:UNUSED_PAD src0_sel:DWORD src1_sel:WORD_1
	v_subrev_u32_e32 v7, 28, v6
	v_and_b32_e32 v5, 15, v5
	v_lshlrev_b32_e32 v7, v7, v3
	v_sub_u32_e32 v6, 29, v6
	v_and_b32_e32 v7, 7, v7
	v_cmp_eq_u16_e32 vcc, 0, v5
	v_lshrrev_b16_sdwa v4, v44, v96 dst_sel:DWORD dst_unused:UNUSED_PAD src0_sel:DWORD src1_sel:WORD_1
	v_cndmask_b32_e32 v3, v3, v7, vcc
	v_cndmask_b32_e32 v5, v5, v6, vcc
	v_lshlrev_b32_e32 v3, 20, v3
	v_lshlrev_b32_e32 v4, 31, v4
	v_lshl_add_u32 v5, v5, 23, v126
	v_or3_b32 v3, v4, v5, v3
.LBB4_1098:                             ;   in Loop: Header=BB4_62 Depth=1
	s_or_b64 exec, exec, s[6:7]
	v_cmp_gt_i16_sdwa s[6:7], v97, s24 src0_sel:BYTE_0 src1_sel:DWORD
	s_mov_b64 s[4:5], 0
                                        ; implicit-def: $sgpr10
	s_and_saveexec_b64 s[8:9], s[6:7]
	s_xor_b64 s[6:7], exec, s[8:9]
	s_cbranch_execnz .LBB4_2121
; %bb.1099:                             ;   in Loop: Header=BB4_62 Depth=1
	s_or_saveexec_b64 s[6:7], s[6:7]
	v_mov_b32_e32 v96, s10
	s_xor_b64 exec, exec, s[6:7]
	s_cbranch_execnz .LBB4_2124
.LBB4_1100:                             ;   in Loop: Header=BB4_62 Depth=1
	s_or_b64 exec, exec, s[6:7]
	s_and_saveexec_b64 s[6:7], s[4:5]
	s_cbranch_execz .LBB4_1102
.LBB4_1101:                             ;   in Loop: Header=BB4_62 Depth=1
	v_and_b32_e32 v4, 7, v97
	v_ffbh_u32_e32 v7, v4
	v_min_u32_e32 v7, 32, v7
	v_lshrrev_b16_e32 v6, 3, v97
	v_subrev_u32_e32 v8, 28, v7
	v_and_b32_e32 v6, 15, v6
	v_lshlrev_b32_e32 v8, v8, v4
	v_sub_u32_e32 v7, 29, v7
	v_and_b32_e32 v8, 7, v8
	v_cmp_eq_u16_e32 vcc, 0, v6
	v_lshrrev_b16_e32 v5, 7, v97
	v_cndmask_b32_e32 v4, v4, v8, vcc
	v_cndmask_b32_e32 v6, v6, v7, vcc
	v_lshlrev_b32_e32 v4, 20, v4
	v_lshlrev_b32_e32 v5, 31, v5
	v_lshl_add_u32 v6, v6, 23, v126
	v_or3_b32 v96, v5, v6, v4
.LBB4_1102:                             ;   in Loop: Header=BB4_62 Depth=1
	s_or_b64 exec, exec, s[6:7]
	v_cmp_gt_i16_sdwa s[6:7], v97, s24 src0_sel:BYTE_1 src1_sel:DWORD
	s_mov_b64 s[4:5], 0
                                        ; implicit-def: $sgpr10
	s_and_saveexec_b64 s[8:9], s[6:7]
	s_xor_b64 s[6:7], exec, s[8:9]
	s_cbranch_execnz .LBB4_2125
; %bb.1103:                             ;   in Loop: Header=BB4_62 Depth=1
	s_or_saveexec_b64 s[6:7], s[6:7]
	v_mov_b32_e32 v114, s10
	s_xor_b64 exec, exec, s[6:7]
	s_cbranch_execnz .LBB4_2128
.LBB4_1104:                             ;   in Loop: Header=BB4_62 Depth=1
	s_or_b64 exec, exec, s[6:7]
	s_and_saveexec_b64 s[6:7], s[4:5]
	s_cbranch_execz .LBB4_1106
.LBB4_1105:                             ;   in Loop: Header=BB4_62 Depth=1
	v_and_b32_sdwa v4, v97, v116 dst_sel:DWORD dst_unused:UNUSED_PAD src0_sel:BYTE_1 src1_sel:DWORD
	v_ffbh_u32_e32 v7, v4
	v_min_u32_e32 v7, 32, v7
	v_lshrrev_b16_e32 v6, 11, v97
	v_subrev_u32_e32 v8, 28, v7
	v_and_b32_e32 v6, 15, v6
	v_lshlrev_b32_e32 v8, v8, v4
	v_sub_u32_e32 v7, 29, v7
	v_and_b32_e32 v8, 7, v8
	v_cmp_eq_u16_e32 vcc, 0, v6
	v_lshrrev_b16_e32 v5, 15, v97
	v_cndmask_b32_e32 v4, v4, v8, vcc
	v_cndmask_b32_e32 v6, v6, v7, vcc
	v_lshlrev_b32_e32 v4, 20, v4
	v_lshlrev_b32_e32 v5, 31, v5
	v_lshl_add_u32 v6, v6, 23, v126
	v_or3_b32 v114, v5, v6, v4
.LBB4_1106:                             ;   in Loop: Header=BB4_62 Depth=1
	s_or_b64 exec, exec, s[6:7]
	v_and_b32_sdwa v4, v97, s23 dst_sel:DWORD dst_unused:UNUSED_PAD src0_sel:WORD_1 src1_sel:DWORD
	v_cmp_lt_i16_e32 vcc, s24, v4
	s_mov_b64 s[4:5], 0
                                        ; implicit-def: $sgpr10
	s_and_saveexec_b64 s[6:7], vcc
	s_xor_b64 s[6:7], exec, s[6:7]
	s_cbranch_execnz .LBB4_2129
; %bb.1107:                             ;   in Loop: Header=BB4_62 Depth=1
	s_or_saveexec_b64 s[6:7], s[6:7]
	v_mov_b32_e32 v115, s10
	s_xor_b64 exec, exec, s[6:7]
	s_cbranch_execnz .LBB4_2132
.LBB4_1108:                             ;   in Loop: Header=BB4_62 Depth=1
	s_or_b64 exec, exec, s[6:7]
	s_and_saveexec_b64 s[6:7], s[4:5]
	s_cbranch_execz .LBB4_1110
.LBB4_1109:                             ;   in Loop: Header=BB4_62 Depth=1
	v_and_b32_sdwa v4, v97, v116 dst_sel:DWORD dst_unused:UNUSED_PAD src0_sel:WORD_1 src1_sel:DWORD
	v_ffbh_u32_e32 v7, v4
	v_min_u32_e32 v7, 32, v7
	v_lshrrev_b16_sdwa v6, v117, v97 dst_sel:DWORD dst_unused:UNUSED_PAD src0_sel:DWORD src1_sel:WORD_1
	v_subrev_u32_e32 v8, 28, v7
	v_and_b32_e32 v6, 15, v6
	v_lshlrev_b32_e32 v8, v8, v4
	v_sub_u32_e32 v7, 29, v7
	v_and_b32_e32 v8, 7, v8
	v_cmp_eq_u16_e32 vcc, 0, v6
	v_lshrrev_b16_sdwa v5, v116, v97 dst_sel:DWORD dst_unused:UNUSED_PAD src0_sel:DWORD src1_sel:WORD_1
	v_cndmask_b32_e32 v4, v4, v8, vcc
	v_cndmask_b32_e32 v6, v6, v7, vcc
	v_lshlrev_b32_e32 v4, 20, v4
	v_lshlrev_b32_e32 v5, 31, v5
	v_lshl_add_u32 v6, v6, 23, v126
	v_or3_b32 v115, v5, v6, v4
.LBB4_1110:                             ;   in Loop: Header=BB4_62 Depth=1
	s_or_b64 exec, exec, s[6:7]
	v_lshrrev_b16_sdwa v4, v124, v97 dst_sel:DWORD dst_unused:UNUSED_PAD src0_sel:DWORD src1_sel:WORD_1
	v_cmp_lt_i16_e32 vcc, s24, v4
	s_mov_b64 s[4:5], 0
                                        ; implicit-def: $sgpr10
	s_and_saveexec_b64 s[6:7], vcc
	s_xor_b64 s[6:7], exec, s[6:7]
	s_cbranch_execnz .LBB4_2133
; %bb.1111:                             ;   in Loop: Header=BB4_62 Depth=1
	s_or_saveexec_b64 s[6:7], s[6:7]
	v_mov_b32_e32 v61, s10
	s_xor_b64 exec, exec, s[6:7]
	s_cbranch_execnz .LBB4_2136
.LBB4_1112:                             ;   in Loop: Header=BB4_62 Depth=1
	s_or_b64 exec, exec, s[6:7]
	s_and_saveexec_b64 s[6:7], s[4:5]
	s_cbranch_execz .LBB4_1114
.LBB4_1113:                             ;   in Loop: Header=BB4_62 Depth=1
	v_and_b32_e32 v4, 7, v4
	v_ffbh_u32_e32 v7, v4
	v_min_u32_e32 v7, 32, v7
	v_lshrrev_b16_sdwa v6, v60, v97 dst_sel:DWORD dst_unused:UNUSED_PAD src0_sel:DWORD src1_sel:WORD_1
	v_subrev_u32_e32 v8, 28, v7
	v_and_b32_e32 v6, 15, v6
	v_lshlrev_b32_e32 v8, v8, v4
	v_sub_u32_e32 v7, 29, v7
	v_and_b32_e32 v8, 7, v8
	v_cmp_eq_u16_e32 vcc, 0, v6
	v_lshrrev_b16_sdwa v5, v44, v97 dst_sel:DWORD dst_unused:UNUSED_PAD src0_sel:DWORD src1_sel:WORD_1
	v_cndmask_b32_e32 v4, v4, v8, vcc
	v_cndmask_b32_e32 v6, v6, v7, vcc
	v_lshlrev_b32_e32 v4, 20, v4
	v_lshlrev_b32_e32 v5, 31, v5
	v_lshl_add_u32 v6, v6, 23, v126
	v_or3_b32 v61, v5, v6, v4
.LBB4_1114:                             ;   in Loop: Header=BB4_62 Depth=1
	s_or_b64 exec, exec, s[6:7]
	v_cmp_gt_i16_sdwa s[6:7], v98, s24 src0_sel:BYTE_0 src1_sel:DWORD
	s_mov_b64 s[4:5], 0
                                        ; implicit-def: $sgpr10
	s_and_saveexec_b64 s[8:9], s[6:7]
	s_xor_b64 s[6:7], exec, s[8:9]
	s_cbranch_execnz .LBB4_2137
; %bb.1115:                             ;   in Loop: Header=BB4_62 Depth=1
	s_or_saveexec_b64 s[6:7], s[6:7]
	v_mov_b32_e32 v97, s10
	s_xor_b64 exec, exec, s[6:7]
	s_cbranch_execnz .LBB4_2140
.LBB4_1116:                             ;   in Loop: Header=BB4_62 Depth=1
	s_or_b64 exec, exec, s[6:7]
	s_and_saveexec_b64 s[6:7], s[4:5]
	s_cbranch_execz .LBB4_1118
.LBB4_1117:                             ;   in Loop: Header=BB4_62 Depth=1
	v_and_b32_e32 v4, 7, v98
	v_ffbh_u32_e32 v7, v4
	v_min_u32_e32 v7, 32, v7
	v_lshrrev_b16_e32 v6, 3, v98
	v_subrev_u32_e32 v8, 28, v7
	v_and_b32_e32 v6, 15, v6
	v_lshlrev_b32_e32 v8, v8, v4
	v_sub_u32_e32 v7, 29, v7
	v_and_b32_e32 v8, 7, v8
	v_cmp_eq_u16_e32 vcc, 0, v6
	v_lshrrev_b16_e32 v5, 7, v98
	v_cndmask_b32_e32 v4, v4, v8, vcc
	v_cndmask_b32_e32 v6, v6, v7, vcc
	v_lshlrev_b32_e32 v4, 20, v4
	v_lshlrev_b32_e32 v5, 31, v5
	v_lshl_add_u32 v6, v6, 23, v126
	v_or3_b32 v97, v5, v6, v4
.LBB4_1118:                             ;   in Loop: Header=BB4_62 Depth=1
	s_or_b64 exec, exec, s[6:7]
	v_cmp_gt_i16_sdwa s[6:7], v98, s24 src0_sel:BYTE_1 src1_sel:DWORD
	s_mov_b64 s[4:5], 0
                                        ; implicit-def: $sgpr10
	s_and_saveexec_b64 s[8:9], s[6:7]
	s_xor_b64 s[6:7], exec, s[8:9]
	s_cbranch_execnz .LBB4_2141
; %bb.1119:                             ;   in Loop: Header=BB4_62 Depth=1
	s_or_saveexec_b64 s[6:7], s[6:7]
	v_mov_b32_e32 v63, s10
	s_xor_b64 exec, exec, s[6:7]
	s_cbranch_execnz .LBB4_2144
.LBB4_1120:                             ;   in Loop: Header=BB4_62 Depth=1
	s_or_b64 exec, exec, s[6:7]
	s_and_saveexec_b64 s[6:7], s[4:5]
	s_cbranch_execz .LBB4_1122
.LBB4_1121:                             ;   in Loop: Header=BB4_62 Depth=1
	v_and_b32_sdwa v4, v98, v116 dst_sel:DWORD dst_unused:UNUSED_PAD src0_sel:BYTE_1 src1_sel:DWORD
	v_ffbh_u32_e32 v7, v4
	v_min_u32_e32 v7, 32, v7
	v_lshrrev_b16_e32 v6, 11, v98
	v_subrev_u32_e32 v8, 28, v7
	v_and_b32_e32 v6, 15, v6
	v_lshlrev_b32_e32 v8, v8, v4
	v_sub_u32_e32 v7, 29, v7
	v_and_b32_e32 v8, 7, v8
	v_cmp_eq_u16_e32 vcc, 0, v6
	v_lshrrev_b16_e32 v5, 15, v98
	v_cndmask_b32_e32 v4, v4, v8, vcc
	v_cndmask_b32_e32 v6, v6, v7, vcc
	v_lshlrev_b32_e32 v4, 20, v4
	v_lshlrev_b32_e32 v5, 31, v5
	v_lshl_add_u32 v6, v6, 23, v126
	v_or3_b32 v63, v5, v6, v4
.LBB4_1122:                             ;   in Loop: Header=BB4_62 Depth=1
	s_or_b64 exec, exec, s[6:7]
	v_and_b32_sdwa v5, v98, s23 dst_sel:DWORD dst_unused:UNUSED_PAD src0_sel:WORD_1 src1_sel:DWORD
	v_cmp_lt_i16_e32 vcc, s24, v5
	s_mov_b64 s[4:5], 0
                                        ; implicit-def: $sgpr10
	s_and_saveexec_b64 s[6:7], vcc
	s_xor_b64 s[6:7], exec, s[6:7]
	s_cbranch_execnz .LBB4_2145
; %bb.1123:                             ;   in Loop: Header=BB4_62 Depth=1
	s_or_saveexec_b64 s[6:7], s[6:7]
	v_mov_b32_e32 v4, s10
	s_xor_b64 exec, exec, s[6:7]
	s_cbranch_execnz .LBB4_2148
.LBB4_1124:                             ;   in Loop: Header=BB4_62 Depth=1
	s_or_b64 exec, exec, s[6:7]
	s_and_saveexec_b64 s[6:7], s[4:5]
	s_cbranch_execz .LBB4_1126
.LBB4_1125:                             ;   in Loop: Header=BB4_62 Depth=1
	v_and_b32_sdwa v4, v98, v116 dst_sel:DWORD dst_unused:UNUSED_PAD src0_sel:WORD_1 src1_sel:DWORD
	v_ffbh_u32_e32 v7, v4
	v_min_u32_e32 v7, 32, v7
	v_lshrrev_b16_sdwa v6, v117, v98 dst_sel:DWORD dst_unused:UNUSED_PAD src0_sel:DWORD src1_sel:WORD_1
	v_subrev_u32_e32 v8, 28, v7
	v_and_b32_e32 v6, 15, v6
	v_lshlrev_b32_e32 v8, v8, v4
	v_sub_u32_e32 v7, 29, v7
	v_and_b32_e32 v8, 7, v8
	v_cmp_eq_u16_e32 vcc, 0, v6
	v_lshrrev_b16_sdwa v5, v116, v98 dst_sel:DWORD dst_unused:UNUSED_PAD src0_sel:DWORD src1_sel:WORD_1
	v_cndmask_b32_e32 v4, v4, v8, vcc
	v_cndmask_b32_e32 v6, v6, v7, vcc
	v_lshlrev_b32_e32 v4, 20, v4
	v_lshlrev_b32_e32 v5, 31, v5
	v_lshl_add_u32 v6, v6, 23, v126
	v_or3_b32 v4, v5, v6, v4
.LBB4_1126:                             ;   in Loop: Header=BB4_62 Depth=1
	s_or_b64 exec, exec, s[6:7]
	v_lshrrev_b16_sdwa v6, v124, v98 dst_sel:DWORD dst_unused:UNUSED_PAD src0_sel:DWORD src1_sel:WORD_1
	v_cmp_lt_i16_e32 vcc, s24, v6
	s_mov_b64 s[4:5], 0
                                        ; implicit-def: $sgpr10
	s_and_saveexec_b64 s[6:7], vcc
	s_xor_b64 s[6:7], exec, s[6:7]
	s_cbranch_execnz .LBB4_2149
; %bb.1127:                             ;   in Loop: Header=BB4_62 Depth=1
	s_or_saveexec_b64 s[6:7], s[6:7]
	v_mov_b32_e32 v5, s10
	s_xor_b64 exec, exec, s[6:7]
	s_cbranch_execnz .LBB4_2152
.LBB4_1128:                             ;   in Loop: Header=BB4_62 Depth=1
	s_or_b64 exec, exec, s[6:7]
	s_and_saveexec_b64 s[6:7], s[4:5]
	s_cbranch_execz .LBB4_1130
.LBB4_1129:                             ;   in Loop: Header=BB4_62 Depth=1
	v_and_b32_e32 v5, 7, v6
	v_ffbh_u32_e32 v8, v5
	v_min_u32_e32 v8, 32, v8
	v_lshrrev_b16_sdwa v7, v60, v98 dst_sel:DWORD dst_unused:UNUSED_PAD src0_sel:DWORD src1_sel:WORD_1
	v_subrev_u32_e32 v9, 28, v8
	v_and_b32_e32 v7, 15, v7
	v_lshlrev_b32_e32 v9, v9, v5
	v_sub_u32_e32 v8, 29, v8
	v_and_b32_e32 v9, 7, v9
	v_cmp_eq_u16_e32 vcc, 0, v7
	v_lshrrev_b16_sdwa v6, v44, v98 dst_sel:DWORD dst_unused:UNUSED_PAD src0_sel:DWORD src1_sel:WORD_1
	v_cndmask_b32_e32 v5, v5, v9, vcc
	v_cndmask_b32_e32 v7, v7, v8, vcc
	v_lshlrev_b32_e32 v5, 20, v5
	v_lshlrev_b32_e32 v6, 31, v6
	v_lshl_add_u32 v7, v7, 23, v126
	v_or3_b32 v5, v6, v7, v5
.LBB4_1130:                             ;   in Loop: Header=BB4_62 Depth=1
	s_or_b64 exec, exec, s[6:7]
	v_cmp_gt_i16_sdwa s[6:7], v99, s24 src0_sel:BYTE_0 src1_sel:DWORD
	s_mov_b64 s[4:5], 0
                                        ; implicit-def: $sgpr10
	s_and_saveexec_b64 s[8:9], s[6:7]
	s_xor_b64 s[6:7], exec, s[8:9]
	s_cbranch_execnz .LBB4_2153
; %bb.1131:                             ;   in Loop: Header=BB4_62 Depth=1
	s_or_saveexec_b64 s[6:7], s[6:7]
	v_mov_b32_e32 v6, s10
	s_xor_b64 exec, exec, s[6:7]
	s_cbranch_execnz .LBB4_2156
.LBB4_1132:                             ;   in Loop: Header=BB4_62 Depth=1
	s_or_b64 exec, exec, s[6:7]
	s_and_saveexec_b64 s[6:7], s[4:5]
	s_cbranch_execz .LBB4_1134
.LBB4_1133:                             ;   in Loop: Header=BB4_62 Depth=1
	v_and_b32_e32 v6, 7, v99
	v_ffbh_u32_e32 v9, v6
	v_min_u32_e32 v9, 32, v9
	v_lshrrev_b16_e32 v8, 3, v99
	v_subrev_u32_e32 v10, 28, v9
	v_and_b32_e32 v8, 15, v8
	v_lshlrev_b32_e32 v10, v10, v6
	v_sub_u32_e32 v9, 29, v9
	v_and_b32_e32 v10, 7, v10
	v_cmp_eq_u16_e32 vcc, 0, v8
	v_lshrrev_b16_e32 v7, 7, v99
	v_cndmask_b32_e32 v6, v6, v10, vcc
	v_cndmask_b32_e32 v8, v8, v9, vcc
	v_lshlrev_b32_e32 v6, 20, v6
	v_lshlrev_b32_e32 v7, 31, v7
	v_lshl_add_u32 v8, v8, 23, v126
	v_or3_b32 v6, v7, v8, v6
.LBB4_1134:                             ;   in Loop: Header=BB4_62 Depth=1
	s_or_b64 exec, exec, s[6:7]
	v_cmp_gt_i16_sdwa s[6:7], v99, s24 src0_sel:BYTE_1 src1_sel:DWORD
	s_mov_b64 s[4:5], 0
                                        ; implicit-def: $sgpr10
	s_and_saveexec_b64 s[8:9], s[6:7]
	s_xor_b64 s[6:7], exec, s[8:9]
	s_cbranch_execnz .LBB4_2157
; %bb.1135:                             ;   in Loop: Header=BB4_62 Depth=1
	s_or_saveexec_b64 s[6:7], s[6:7]
	v_mov_b32_e32 v7, s10
	s_xor_b64 exec, exec, s[6:7]
	s_cbranch_execnz .LBB4_2160
.LBB4_1136:                             ;   in Loop: Header=BB4_62 Depth=1
	s_or_b64 exec, exec, s[6:7]
	s_and_saveexec_b64 s[6:7], s[4:5]
	s_cbranch_execz .LBB4_1138
.LBB4_1137:                             ;   in Loop: Header=BB4_62 Depth=1
	v_and_b32_sdwa v7, v99, v116 dst_sel:DWORD dst_unused:UNUSED_PAD src0_sel:BYTE_1 src1_sel:DWORD
	v_ffbh_u32_e32 v10, v7
	v_min_u32_e32 v10, 32, v10
	v_lshrrev_b16_e32 v9, 11, v99
	v_subrev_u32_e32 v11, 28, v10
	v_and_b32_e32 v9, 15, v9
	v_lshlrev_b32_e32 v11, v11, v7
	v_sub_u32_e32 v10, 29, v10
	v_and_b32_e32 v11, 7, v11
	v_cmp_eq_u16_e32 vcc, 0, v9
	v_lshrrev_b16_e32 v8, 15, v99
	v_cndmask_b32_e32 v7, v7, v11, vcc
	v_cndmask_b32_e32 v9, v9, v10, vcc
	v_lshlrev_b32_e32 v7, 20, v7
	v_lshlrev_b32_e32 v8, 31, v8
	v_lshl_add_u32 v9, v9, 23, v126
	v_or3_b32 v7, v8, v9, v7
.LBB4_1138:                             ;   in Loop: Header=BB4_62 Depth=1
	s_or_b64 exec, exec, s[6:7]
	v_and_b32_sdwa v8, v99, s23 dst_sel:DWORD dst_unused:UNUSED_PAD src0_sel:WORD_1 src1_sel:DWORD
	v_cmp_lt_i16_e32 vcc, s24, v8
	s_mov_b64 s[4:5], 0
                                        ; implicit-def: $sgpr10
	s_and_saveexec_b64 s[6:7], vcc
	s_xor_b64 s[6:7], exec, s[6:7]
	s_cbranch_execnz .LBB4_2161
; %bb.1139:                             ;   in Loop: Header=BB4_62 Depth=1
	s_or_saveexec_b64 s[6:7], s[6:7]
	v_mov_b32_e32 v98, s10
	s_xor_b64 exec, exec, s[6:7]
	s_cbranch_execnz .LBB4_2164
.LBB4_1140:                             ;   in Loop: Header=BB4_62 Depth=1
	s_or_b64 exec, exec, s[6:7]
	s_and_saveexec_b64 s[6:7], s[4:5]
	s_cbranch_execz .LBB4_1142
.LBB4_1141:                             ;   in Loop: Header=BB4_62 Depth=1
	v_and_b32_sdwa v8, v99, v116 dst_sel:DWORD dst_unused:UNUSED_PAD src0_sel:WORD_1 src1_sel:DWORD
	v_ffbh_u32_e32 v11, v8
	v_min_u32_e32 v11, 32, v11
	v_lshrrev_b16_sdwa v10, v117, v99 dst_sel:DWORD dst_unused:UNUSED_PAD src0_sel:DWORD src1_sel:WORD_1
	v_subrev_u32_e32 v98, 28, v11
	v_and_b32_e32 v10, 15, v10
	v_lshlrev_b32_e32 v98, v98, v8
	v_sub_u32_e32 v11, 29, v11
	v_and_b32_e32 v98, 7, v98
	v_cmp_eq_u16_e32 vcc, 0, v10
	v_lshrrev_b16_sdwa v9, v116, v99 dst_sel:DWORD dst_unused:UNUSED_PAD src0_sel:DWORD src1_sel:WORD_1
	v_cndmask_b32_e32 v8, v8, v98, vcc
	v_cndmask_b32_e32 v10, v10, v11, vcc
	v_lshlrev_b32_e32 v8, 20, v8
	v_lshlrev_b32_e32 v9, 31, v9
	v_lshl_add_u32 v10, v10, 23, v126
	v_or3_b32 v98, v9, v10, v8
.LBB4_1142:                             ;   in Loop: Header=BB4_62 Depth=1
	s_or_b64 exec, exec, s[6:7]
	v_lshrrev_b16_sdwa v72, v124, v99 dst_sel:DWORD dst_unused:UNUSED_PAD src0_sel:DWORD src1_sel:WORD_1
	v_cmp_lt_i16_e32 vcc, s24, v72
	s_mov_b64 s[4:5], 0
                                        ; implicit-def: $sgpr10
	s_and_saveexec_b64 s[6:7], vcc
	s_xor_b64 s[6:7], exec, s[6:7]
	s_cbranch_execnz .LBB4_2165
; %bb.1143:                             ;   in Loop: Header=BB4_62 Depth=1
	s_or_saveexec_b64 s[6:7], s[6:7]
	v_mov_b32_e32 v8, s10
	s_xor_b64 exec, exec, s[6:7]
	s_cbranch_execnz .LBB4_2168
.LBB4_1144:                             ;   in Loop: Header=BB4_62 Depth=1
	s_or_b64 exec, exec, s[6:7]
	s_and_saveexec_b64 s[6:7], s[4:5]
	s_cbranch_execz .LBB4_61
	s_branch .LBB4_2169
.LBB4_1145:                             ;   in Loop: Header=BB4_62 Depth=1
	v_cmp_eq_u16_sdwa s[12:13], v32, s25 src0_sel:BYTE_0 src1_sel:DWORD
	s_mov_b64 s[4:5], -1
                                        ; implicit-def: $sgpr10
	s_and_saveexec_b64 s[8:9], s[12:13]
; %bb.1146:                             ;   in Loop: Header=BB4_62 Depth=1
	s_mov_b32 s10, 0x7f800001
	s_xor_b64 s[4:5], exec, -1
; %bb.1147:                             ;   in Loop: Header=BB4_62 Depth=1
	s_or_b64 exec, exec, s[8:9]
	s_and_b64 s[4:5], s[4:5], exec
	s_or_saveexec_b64 s[6:7], s[6:7]
	v_mov_b32_e32 v0, s10
	s_xor_b64 exec, exec, s[6:7]
	s_cbranch_execz .LBB4_124
.LBB4_1148:                             ;   in Loop: Header=BB4_62 Depth=1
	v_cmp_ne_u16_sdwa s[8:9], v32, v62 src0_sel:BYTE_0 src1_sel:DWORD
	s_andn2_b64 s[4:5], s[4:5], exec
	s_and_b64 s[8:9], s[8:9], exec
	v_mov_b32_e32 v0, 0
	s_or_b64 s[4:5], s[4:5], s[8:9]
	s_or_b64 exec, exec, s[6:7]
	s_and_saveexec_b64 s[6:7], s[4:5]
	s_cbranch_execnz .LBB4_125
	s_branch .LBB4_126
.LBB4_1149:                             ;   in Loop: Header=BB4_62 Depth=1
	v_cmp_eq_u16_sdwa s[12:13], v32, s25 src0_sel:BYTE_1 src1_sel:DWORD
	s_mov_b64 s[4:5], -1
                                        ; implicit-def: $sgpr10
	s_and_saveexec_b64 s[8:9], s[12:13]
; %bb.1150:                             ;   in Loop: Header=BB4_62 Depth=1
	s_mov_b32 s10, 0x7f800001
	s_xor_b64 s[4:5], exec, -1
; %bb.1151:                             ;   in Loop: Header=BB4_62 Depth=1
	s_or_b64 exec, exec, s[8:9]
	s_and_b64 s[4:5], s[4:5], exec
	s_or_saveexec_b64 s[6:7], s[6:7]
	v_mov_b32_e32 v1, s10
	s_xor_b64 exec, exec, s[6:7]
	s_cbranch_execz .LBB4_128
.LBB4_1152:                             ;   in Loop: Header=BB4_62 Depth=1
	v_cmp_ne_u16_sdwa s[8:9], v32, v62 src0_sel:BYTE_1 src1_sel:DWORD
	s_andn2_b64 s[4:5], s[4:5], exec
	s_and_b64 s[8:9], s[8:9], exec
	v_mov_b32_e32 v1, 0
	s_or_b64 s[4:5], s[4:5], s[8:9]
	s_or_b64 exec, exec, s[6:7]
	s_and_saveexec_b64 s[6:7], s[4:5]
	s_cbranch_execnz .LBB4_129
	s_branch .LBB4_130
.LBB4_1153:                             ;   in Loop: Header=BB4_62 Depth=1
	v_cmp_eq_u16_e32 vcc, s25, v3
	s_mov_b64 s[4:5], -1
                                        ; implicit-def: $sgpr10
	s_and_saveexec_b64 s[8:9], vcc
; %bb.1154:                             ;   in Loop: Header=BB4_62 Depth=1
	s_mov_b32 s10, 0x7f800001
	s_xor_b64 s[4:5], exec, -1
; %bb.1155:                             ;   in Loop: Header=BB4_62 Depth=1
	s_or_b64 exec, exec, s[8:9]
	s_and_b64 s[4:5], s[4:5], exec
                                        ; implicit-def: $vgpr3
	s_or_saveexec_b64 s[6:7], s[6:7]
	v_mov_b32_e32 v2, s10
	s_xor_b64 exec, exec, s[6:7]
	s_cbranch_execz .LBB4_132
.LBB4_1156:                             ;   in Loop: Header=BB4_62 Depth=1
	v_cmp_ne_u16_e32 vcc, 0, v3
	s_andn2_b64 s[4:5], s[4:5], exec
	s_and_b64 s[8:9], vcc, exec
	v_mov_b32_e32 v2, 0
	s_or_b64 s[4:5], s[4:5], s[8:9]
	s_or_b64 exec, exec, s[6:7]
	s_and_saveexec_b64 s[6:7], s[4:5]
	s_cbranch_execnz .LBB4_133
	s_branch .LBB4_134
.LBB4_1157:                             ;   in Loop: Header=BB4_62 Depth=1
	v_cmp_eq_u16_e32 vcc, s25, v4
	s_mov_b64 s[4:5], -1
                                        ; implicit-def: $sgpr10
	s_and_saveexec_b64 s[8:9], vcc
; %bb.1158:                             ;   in Loop: Header=BB4_62 Depth=1
	s_mov_b32 s10, 0x7f800001
	s_xor_b64 s[4:5], exec, -1
; %bb.1159:                             ;   in Loop: Header=BB4_62 Depth=1
	s_or_b64 exec, exec, s[8:9]
	s_and_b64 s[4:5], s[4:5], exec
	s_or_saveexec_b64 s[6:7], s[6:7]
	v_mov_b32_e32 v3, s10
	s_xor_b64 exec, exec, s[6:7]
	s_cbranch_execz .LBB4_136
.LBB4_1160:                             ;   in Loop: Header=BB4_62 Depth=1
	v_cmp_ne_u16_e32 vcc, 0, v4
	s_andn2_b64 s[4:5], s[4:5], exec
	s_and_b64 s[8:9], vcc, exec
	v_mov_b32_e32 v3, 0
	s_or_b64 s[4:5], s[4:5], s[8:9]
	s_or_b64 exec, exec, s[6:7]
	s_and_saveexec_b64 s[6:7], s[4:5]
	s_cbranch_execnz .LBB4_137
	s_branch .LBB4_138
.LBB4_1161:                             ;   in Loop: Header=BB4_62 Depth=1
	v_cmp_eq_u16_sdwa s[12:13], v33, s25 src0_sel:BYTE_0 src1_sel:DWORD
	s_mov_b64 s[4:5], -1
                                        ; implicit-def: $sgpr10
	s_and_saveexec_b64 s[8:9], s[12:13]
; %bb.1162:                             ;   in Loop: Header=BB4_62 Depth=1
	s_mov_b32 s10, 0x7f800001
	s_xor_b64 s[4:5], exec, -1
; %bb.1163:                             ;   in Loop: Header=BB4_62 Depth=1
	s_or_b64 exec, exec, s[8:9]
	s_and_b64 s[4:5], s[4:5], exec
	s_or_saveexec_b64 s[6:7], s[6:7]
	v_mov_b32_e32 v32, s10
	s_xor_b64 exec, exec, s[6:7]
	s_cbranch_execz .LBB4_140
.LBB4_1164:                             ;   in Loop: Header=BB4_62 Depth=1
	v_cmp_ne_u16_sdwa s[8:9], v33, v62 src0_sel:BYTE_0 src1_sel:DWORD
	s_andn2_b64 s[4:5], s[4:5], exec
	s_and_b64 s[8:9], s[8:9], exec
	v_mov_b32_e32 v32, 0
	s_or_b64 s[4:5], s[4:5], s[8:9]
	s_or_b64 exec, exec, s[6:7]
	s_and_saveexec_b64 s[6:7], s[4:5]
	s_cbranch_execnz .LBB4_141
	s_branch .LBB4_142
.LBB4_1165:                             ;   in Loop: Header=BB4_62 Depth=1
	v_cmp_eq_u16_sdwa s[12:13], v33, s25 src0_sel:BYTE_1 src1_sel:DWORD
	s_mov_b64 s[4:5], -1
                                        ; implicit-def: $sgpr10
	s_and_saveexec_b64 s[8:9], s[12:13]
; %bb.1166:                             ;   in Loop: Header=BB4_62 Depth=1
	s_mov_b32 s10, 0x7f800001
	s_xor_b64 s[4:5], exec, -1
; %bb.1167:                             ;   in Loop: Header=BB4_62 Depth=1
	s_or_b64 exec, exec, s[8:9]
	s_and_b64 s[4:5], s[4:5], exec
	s_or_saveexec_b64 s[6:7], s[6:7]
	v_mov_b32_e32 v38, s10
	s_xor_b64 exec, exec, s[6:7]
	s_cbranch_execz .LBB4_144
.LBB4_1168:                             ;   in Loop: Header=BB4_62 Depth=1
	v_cmp_ne_u16_sdwa s[8:9], v33, v62 src0_sel:BYTE_1 src1_sel:DWORD
	s_andn2_b64 s[4:5], s[4:5], exec
	s_and_b64 s[8:9], s[8:9], exec
	v_mov_b32_e32 v38, 0
	s_or_b64 s[4:5], s[4:5], s[8:9]
	s_or_b64 exec, exec, s[6:7]
	s_and_saveexec_b64 s[6:7], s[4:5]
	s_cbranch_execnz .LBB4_145
	s_branch .LBB4_146
.LBB4_1169:                             ;   in Loop: Header=BB4_62 Depth=1
	v_cmp_eq_u16_e32 vcc, s25, v4
	s_mov_b64 s[4:5], -1
                                        ; implicit-def: $sgpr10
	s_and_saveexec_b64 s[8:9], vcc
; %bb.1170:                             ;   in Loop: Header=BB4_62 Depth=1
	s_mov_b32 s10, 0x7f800001
	s_xor_b64 s[4:5], exec, -1
; %bb.1171:                             ;   in Loop: Header=BB4_62 Depth=1
	s_or_b64 exec, exec, s[8:9]
	s_and_b64 s[4:5], s[4:5], exec
                                        ; implicit-def: $vgpr4
	s_or_saveexec_b64 s[6:7], s[6:7]
	v_mov_b32_e32 v39, s10
	s_xor_b64 exec, exec, s[6:7]
	s_cbranch_execz .LBB4_148
.LBB4_1172:                             ;   in Loop: Header=BB4_62 Depth=1
	v_cmp_ne_u16_e32 vcc, 0, v4
	s_andn2_b64 s[4:5], s[4:5], exec
	s_and_b64 s[8:9], vcc, exec
	v_mov_b32_e32 v39, 0
	s_or_b64 s[4:5], s[4:5], s[8:9]
	s_or_b64 exec, exec, s[6:7]
	s_and_saveexec_b64 s[6:7], s[4:5]
	s_cbranch_execnz .LBB4_149
	s_branch .LBB4_150
.LBB4_1173:                             ;   in Loop: Header=BB4_62 Depth=1
	v_cmp_eq_u16_e32 vcc, s25, v4
	s_mov_b64 s[4:5], -1
                                        ; implicit-def: $sgpr10
	s_and_saveexec_b64 s[8:9], vcc
; %bb.1174:                             ;   in Loop: Header=BB4_62 Depth=1
	s_mov_b32 s10, 0x7f800001
	s_xor_b64 s[4:5], exec, -1
; %bb.1175:                             ;   in Loop: Header=BB4_62 Depth=1
	s_or_b64 exec, exec, s[8:9]
	s_and_b64 s[4:5], s[4:5], exec
	s_or_saveexec_b64 s[6:7], s[6:7]
	v_mov_b32_e32 v48, s10
	s_xor_b64 exec, exec, s[6:7]
	s_cbranch_execz .LBB4_152
.LBB4_1176:                             ;   in Loop: Header=BB4_62 Depth=1
	v_cmp_ne_u16_e32 vcc, 0, v4
	s_andn2_b64 s[4:5], s[4:5], exec
	s_and_b64 s[8:9], vcc, exec
	v_mov_b32_e32 v48, 0
	s_or_b64 s[4:5], s[4:5], s[8:9]
	s_or_b64 exec, exec, s[6:7]
	s_and_saveexec_b64 s[6:7], s[4:5]
	s_cbranch_execnz .LBB4_153
	s_branch .LBB4_154
.LBB4_1177:                             ;   in Loop: Header=BB4_62 Depth=1
	v_cmp_eq_u16_sdwa s[12:13], v34, s25 src0_sel:BYTE_0 src1_sel:DWORD
	s_mov_b64 s[4:5], -1
                                        ; implicit-def: $sgpr10
	s_and_saveexec_b64 s[8:9], s[12:13]
; %bb.1178:                             ;   in Loop: Header=BB4_62 Depth=1
	s_mov_b32 s10, 0x7f800001
	s_xor_b64 s[4:5], exec, -1
; %bb.1179:                             ;   in Loop: Header=BB4_62 Depth=1
	s_or_b64 exec, exec, s[8:9]
	s_and_b64 s[4:5], s[4:5], exec
	s_or_saveexec_b64 s[6:7], s[6:7]
	v_mov_b32_e32 v33, s10
	s_xor_b64 exec, exec, s[6:7]
	s_cbranch_execz .LBB4_156
.LBB4_1180:                             ;   in Loop: Header=BB4_62 Depth=1
	v_cmp_ne_u16_sdwa s[8:9], v34, v62 src0_sel:BYTE_0 src1_sel:DWORD
	s_andn2_b64 s[4:5], s[4:5], exec
	s_and_b64 s[8:9], s[8:9], exec
	v_mov_b32_e32 v33, 0
	s_or_b64 s[4:5], s[4:5], s[8:9]
	s_or_b64 exec, exec, s[6:7]
	s_and_saveexec_b64 s[6:7], s[4:5]
	s_cbranch_execnz .LBB4_157
	s_branch .LBB4_158
.LBB4_1181:                             ;   in Loop: Header=BB4_62 Depth=1
	v_cmp_eq_u16_sdwa s[12:13], v34, s25 src0_sel:BYTE_1 src1_sel:DWORD
	s_mov_b64 s[4:5], -1
                                        ; implicit-def: $sgpr10
	s_and_saveexec_b64 s[8:9], s[12:13]
; %bb.1182:                             ;   in Loop: Header=BB4_62 Depth=1
	s_mov_b32 s10, 0x7f800001
	s_xor_b64 s[4:5], exec, -1
; %bb.1183:                             ;   in Loop: Header=BB4_62 Depth=1
	s_or_b64 exec, exec, s[8:9]
	s_and_b64 s[4:5], s[4:5], exec
	s_or_saveexec_b64 s[6:7], s[6:7]
	v_mov_b32_e32 v49, s10
	s_xor_b64 exec, exec, s[6:7]
	s_cbranch_execz .LBB4_160
.LBB4_1184:                             ;   in Loop: Header=BB4_62 Depth=1
	v_cmp_ne_u16_sdwa s[8:9], v34, v62 src0_sel:BYTE_1 src1_sel:DWORD
	s_andn2_b64 s[4:5], s[4:5], exec
	s_and_b64 s[8:9], s[8:9], exec
	v_mov_b32_e32 v49, 0
	s_or_b64 s[4:5], s[4:5], s[8:9]
	s_or_b64 exec, exec, s[6:7]
	s_and_saveexec_b64 s[6:7], s[4:5]
	s_cbranch_execnz .LBB4_161
	s_branch .LBB4_162
.LBB4_1185:                             ;   in Loop: Header=BB4_62 Depth=1
	v_cmp_eq_u16_e32 vcc, s25, v4
	s_mov_b64 s[4:5], -1
                                        ; implicit-def: $sgpr10
	s_and_saveexec_b64 s[8:9], vcc
; %bb.1186:                             ;   in Loop: Header=BB4_62 Depth=1
	s_mov_b32 s10, 0x7f800001
	s_xor_b64 s[4:5], exec, -1
; %bb.1187:                             ;   in Loop: Header=BB4_62 Depth=1
	s_or_b64 exec, exec, s[8:9]
	s_and_b64 s[4:5], s[4:5], exec
                                        ; implicit-def: $vgpr4
	s_or_saveexec_b64 s[6:7], s[6:7]
	v_mov_b32_e32 v50, s10
	s_xor_b64 exec, exec, s[6:7]
	s_cbranch_execz .LBB4_164
.LBB4_1188:                             ;   in Loop: Header=BB4_62 Depth=1
	v_cmp_ne_u16_e32 vcc, 0, v4
	s_andn2_b64 s[4:5], s[4:5], exec
	s_and_b64 s[8:9], vcc, exec
	v_mov_b32_e32 v50, 0
	s_or_b64 s[4:5], s[4:5], s[8:9]
	s_or_b64 exec, exec, s[6:7]
	s_and_saveexec_b64 s[6:7], s[4:5]
	s_cbranch_execnz .LBB4_165
	s_branch .LBB4_166
.LBB4_1189:                             ;   in Loop: Header=BB4_62 Depth=1
	v_cmp_eq_u16_e32 vcc, s25, v5
	s_mov_b64 s[4:5], -1
                                        ; implicit-def: $sgpr10
	s_and_saveexec_b64 s[8:9], vcc
; %bb.1190:                             ;   in Loop: Header=BB4_62 Depth=1
	s_mov_b32 s10, 0x7f800001
	s_xor_b64 s[4:5], exec, -1
; %bb.1191:                             ;   in Loop: Header=BB4_62 Depth=1
	s_or_b64 exec, exec, s[8:9]
	s_and_b64 s[4:5], s[4:5], exec
	s_or_saveexec_b64 s[6:7], s[6:7]
	v_mov_b32_e32 v4, s10
	s_xor_b64 exec, exec, s[6:7]
	s_cbranch_execz .LBB4_168
.LBB4_1192:                             ;   in Loop: Header=BB4_62 Depth=1
	v_cmp_ne_u16_e32 vcc, 0, v5
	s_andn2_b64 s[4:5], s[4:5], exec
	s_and_b64 s[8:9], vcc, exec
	v_mov_b32_e32 v4, 0
	s_or_b64 s[4:5], s[4:5], s[8:9]
	s_or_b64 exec, exec, s[6:7]
	s_and_saveexec_b64 s[6:7], s[4:5]
	s_cbranch_execnz .LBB4_169
	s_branch .LBB4_170
.LBB4_1193:                             ;   in Loop: Header=BB4_62 Depth=1
	v_cmp_eq_u16_sdwa s[12:13], v35, s25 src0_sel:BYTE_0 src1_sel:DWORD
	s_mov_b64 s[4:5], -1
                                        ; implicit-def: $sgpr10
	s_and_saveexec_b64 s[8:9], s[12:13]
; %bb.1194:                             ;   in Loop: Header=BB4_62 Depth=1
	s_mov_b32 s10, 0x7f800001
	s_xor_b64 s[4:5], exec, -1
; %bb.1195:                             ;   in Loop: Header=BB4_62 Depth=1
	s_or_b64 exec, exec, s[8:9]
	s_and_b64 s[4:5], s[4:5], exec
	s_or_saveexec_b64 s[6:7], s[6:7]
	v_mov_b32_e32 v5, s10
	s_xor_b64 exec, exec, s[6:7]
	s_cbranch_execz .LBB4_172
.LBB4_1196:                             ;   in Loop: Header=BB4_62 Depth=1
	v_cmp_ne_u16_sdwa s[8:9], v35, v62 src0_sel:BYTE_0 src1_sel:DWORD
	s_andn2_b64 s[4:5], s[4:5], exec
	s_and_b64 s[8:9], s[8:9], exec
	v_mov_b32_e32 v5, 0
	s_or_b64 s[4:5], s[4:5], s[8:9]
	s_or_b64 exec, exec, s[6:7]
	s_and_saveexec_b64 s[6:7], s[4:5]
	s_cbranch_execnz .LBB4_173
	s_branch .LBB4_174
.LBB4_1197:                             ;   in Loop: Header=BB4_62 Depth=1
	v_cmp_eq_u16_sdwa s[12:13], v35, s25 src0_sel:BYTE_1 src1_sel:DWORD
	s_mov_b64 s[4:5], -1
                                        ; implicit-def: $sgpr10
	s_and_saveexec_b64 s[8:9], s[12:13]
; %bb.1198:                             ;   in Loop: Header=BB4_62 Depth=1
	s_mov_b32 s10, 0x7f800001
	s_xor_b64 s[4:5], exec, -1
; %bb.1199:                             ;   in Loop: Header=BB4_62 Depth=1
	s_or_b64 exec, exec, s[8:9]
	s_and_b64 s[4:5], s[4:5], exec
	s_or_saveexec_b64 s[6:7], s[6:7]
	v_mov_b32_e32 v6, s10
	s_xor_b64 exec, exec, s[6:7]
	s_cbranch_execz .LBB4_176
.LBB4_1200:                             ;   in Loop: Header=BB4_62 Depth=1
	v_cmp_ne_u16_sdwa s[8:9], v35, v62 src0_sel:BYTE_1 src1_sel:DWORD
	s_andn2_b64 s[4:5], s[4:5], exec
	s_and_b64 s[8:9], s[8:9], exec
	v_mov_b32_e32 v6, 0
	s_or_b64 s[4:5], s[4:5], s[8:9]
	s_or_b64 exec, exec, s[6:7]
	s_and_saveexec_b64 s[6:7], s[4:5]
	s_cbranch_execnz .LBB4_177
	s_branch .LBB4_178
.LBB4_1201:                             ;   in Loop: Header=BB4_62 Depth=1
	v_cmp_eq_u16_e32 vcc, s25, v8
	s_mov_b64 s[4:5], -1
                                        ; implicit-def: $sgpr10
	s_and_saveexec_b64 s[8:9], vcc
; %bb.1202:                             ;   in Loop: Header=BB4_62 Depth=1
	s_mov_b32 s10, 0x7f800001
	s_xor_b64 s[4:5], exec, -1
; %bb.1203:                             ;   in Loop: Header=BB4_62 Depth=1
	s_or_b64 exec, exec, s[8:9]
	s_and_b64 s[4:5], s[4:5], exec
                                        ; implicit-def: $vgpr8
	s_or_saveexec_b64 s[6:7], s[6:7]
	v_mov_b32_e32 v7, s10
	s_xor_b64 exec, exec, s[6:7]
	s_cbranch_execz .LBB4_180
.LBB4_1204:                             ;   in Loop: Header=BB4_62 Depth=1
	v_cmp_ne_u16_e32 vcc, 0, v8
	s_andn2_b64 s[4:5], s[4:5], exec
	s_and_b64 s[8:9], vcc, exec
	v_mov_b32_e32 v7, 0
	s_or_b64 s[4:5], s[4:5], s[8:9]
	s_or_b64 exec, exec, s[6:7]
	s_and_saveexec_b64 s[6:7], s[4:5]
	s_cbranch_execnz .LBB4_181
	s_branch .LBB4_182
.LBB4_1205:                             ;   in Loop: Header=BB4_62 Depth=1
	v_cmp_eq_u16_e32 vcc, s25, v34
	s_mov_b64 s[4:5], -1
                                        ; implicit-def: $sgpr10
	s_and_saveexec_b64 s[8:9], vcc
; %bb.1206:                             ;   in Loop: Header=BB4_62 Depth=1
	s_mov_b32 s10, 0x7f800001
	s_xor_b64 s[4:5], exec, -1
; %bb.1207:                             ;   in Loop: Header=BB4_62 Depth=1
	s_or_b64 exec, exec, s[8:9]
	s_and_b64 s[4:5], s[4:5], exec
	s_or_saveexec_b64 s[6:7], s[6:7]
	v_mov_b32_e32 v51, s10
	s_xor_b64 exec, exec, s[6:7]
	s_cbranch_execz .LBB4_184
.LBB4_1208:                             ;   in Loop: Header=BB4_62 Depth=1
	v_cmp_ne_u16_e32 vcc, 0, v34
	s_andn2_b64 s[4:5], s[4:5], exec
	s_and_b64 s[8:9], vcc, exec
	v_mov_b32_e32 v51, 0
	s_or_b64 s[4:5], s[4:5], s[8:9]
	s_or_b64 exec, exec, s[6:7]
	s_and_saveexec_b64 s[6:7], s[4:5]
	s_cbranch_execnz .LBB4_185
	s_branch .LBB4_186
.LBB4_1209:                             ;   in Loop: Header=BB4_62 Depth=1
	v_cmp_eq_u16_sdwa s[12:13], v32, s25 src0_sel:BYTE_0 src1_sel:DWORD
	s_mov_b64 s[4:5], -1
                                        ; implicit-def: $sgpr10
	s_and_saveexec_b64 s[8:9], s[12:13]
; %bb.1210:                             ;   in Loop: Header=BB4_62 Depth=1
	s_mov_b32 s10, 0x7f800001
	s_xor_b64 s[4:5], exec, -1
; %bb.1211:                             ;   in Loop: Header=BB4_62 Depth=1
	s_or_b64 exec, exec, s[8:9]
	s_and_b64 s[4:5], s[4:5], exec
	s_or_saveexec_b64 s[6:7], s[6:7]
	v_mov_b32_e32 v2, s10
	s_xor_b64 exec, exec, s[6:7]
	s_cbranch_execz .LBB4_188
.LBB4_1212:                             ;   in Loop: Header=BB4_62 Depth=1
	v_cmp_ne_u16_sdwa s[8:9], v32, v62 src0_sel:BYTE_0 src1_sel:DWORD
	s_andn2_b64 s[4:5], s[4:5], exec
	s_and_b64 s[8:9], s[8:9], exec
	v_mov_b32_e32 v2, 0
	s_or_b64 s[4:5], s[4:5], s[8:9]
	s_or_b64 exec, exec, s[6:7]
	s_and_saveexec_b64 s[6:7], s[4:5]
	s_cbranch_execnz .LBB4_189
	s_branch .LBB4_190
.LBB4_1213:                             ;   in Loop: Header=BB4_62 Depth=1
	v_cmp_eq_u16_sdwa s[12:13], v32, s25 src0_sel:BYTE_1 src1_sel:DWORD
	s_mov_b64 s[4:5], -1
                                        ; implicit-def: $sgpr10
	s_and_saveexec_b64 s[8:9], s[12:13]
; %bb.1214:                             ;   in Loop: Header=BB4_62 Depth=1
	s_mov_b32 s10, 0x7f800001
	s_xor_b64 s[4:5], exec, -1
; %bb.1215:                             ;   in Loop: Header=BB4_62 Depth=1
	s_or_b64 exec, exec, s[8:9]
	s_and_b64 s[4:5], s[4:5], exec
	s_or_saveexec_b64 s[6:7], s[6:7]
	v_mov_b32_e32 v3, s10
	s_xor_b64 exec, exec, s[6:7]
	s_cbranch_execz .LBB4_192
.LBB4_1216:                             ;   in Loop: Header=BB4_62 Depth=1
	v_cmp_ne_u16_sdwa s[8:9], v32, v62 src0_sel:BYTE_1 src1_sel:DWORD
	s_andn2_b64 s[4:5], s[4:5], exec
	s_and_b64 s[8:9], s[8:9], exec
	v_mov_b32_e32 v3, 0
	s_or_b64 s[4:5], s[4:5], s[8:9]
	s_or_b64 exec, exec, s[6:7]
	s_and_saveexec_b64 s[6:7], s[4:5]
	s_cbranch_execnz .LBB4_193
	s_branch .LBB4_194
.LBB4_1217:                             ;   in Loop: Header=BB4_62 Depth=1
	v_cmp_eq_u16_e32 vcc, s25, v4
	s_mov_b64 s[4:5], -1
                                        ; implicit-def: $sgpr10
	s_and_saveexec_b64 s[8:9], vcc
; %bb.1218:                             ;   in Loop: Header=BB4_62 Depth=1
	s_mov_b32 s10, 0x7f800001
	s_xor_b64 s[4:5], exec, -1
; %bb.1219:                             ;   in Loop: Header=BB4_62 Depth=1
	s_or_b64 exec, exec, s[8:9]
	s_and_b64 s[4:5], s[4:5], exec
                                        ; implicit-def: $vgpr4
	s_or_saveexec_b64 s[6:7], s[6:7]
	v_mov_b32_e32 v64, s10
	s_xor_b64 exec, exec, s[6:7]
	s_cbranch_execz .LBB4_196
.LBB4_1220:                             ;   in Loop: Header=BB4_62 Depth=1
	v_cmp_ne_u16_e32 vcc, 0, v4
	s_andn2_b64 s[4:5], s[4:5], exec
	s_and_b64 s[8:9], vcc, exec
	v_mov_b32_e32 v64, 0
	s_or_b64 s[4:5], s[4:5], s[8:9]
	s_or_b64 exec, exec, s[6:7]
	s_and_saveexec_b64 s[6:7], s[4:5]
	s_cbranch_execnz .LBB4_197
	s_branch .LBB4_198
.LBB4_1221:                             ;   in Loop: Header=BB4_62 Depth=1
	v_cmp_eq_u16_e32 vcc, s25, v4
	s_mov_b64 s[4:5], -1
                                        ; implicit-def: $sgpr10
	s_and_saveexec_b64 s[8:9], vcc
; %bb.1222:                             ;   in Loop: Header=BB4_62 Depth=1
	s_mov_b32 s10, 0x7f800001
	s_xor_b64 s[4:5], exec, -1
; %bb.1223:                             ;   in Loop: Header=BB4_62 Depth=1
	s_or_b64 exec, exec, s[8:9]
	s_and_b64 s[4:5], s[4:5], exec
	s_or_saveexec_b64 s[6:7], s[6:7]
	v_mov_b32_e32 v66, s10
	s_xor_b64 exec, exec, s[6:7]
	s_cbranch_execz .LBB4_200
.LBB4_1224:                             ;   in Loop: Header=BB4_62 Depth=1
	v_cmp_ne_u16_e32 vcc, 0, v4
	s_andn2_b64 s[4:5], s[4:5], exec
	s_and_b64 s[8:9], vcc, exec
	v_mov_b32_e32 v66, 0
	s_or_b64 s[4:5], s[4:5], s[8:9]
	s_or_b64 exec, exec, s[6:7]
	s_and_saveexec_b64 s[6:7], s[4:5]
	s_cbranch_execnz .LBB4_201
	s_branch .LBB4_202
.LBB4_1225:                             ;   in Loop: Header=BB4_62 Depth=1
	v_cmp_eq_u16_sdwa s[12:13], v33, s25 src0_sel:BYTE_0 src1_sel:DWORD
	s_mov_b64 s[4:5], -1
                                        ; implicit-def: $sgpr10
	s_and_saveexec_b64 s[8:9], s[12:13]
; %bb.1226:                             ;   in Loop: Header=BB4_62 Depth=1
	s_mov_b32 s10, 0x7f800001
	s_xor_b64 s[4:5], exec, -1
; %bb.1227:                             ;   in Loop: Header=BB4_62 Depth=1
	s_or_b64 exec, exec, s[8:9]
	s_and_b64 s[4:5], s[4:5], exec
	s_or_saveexec_b64 s[6:7], s[6:7]
	v_mov_b32_e32 v32, s10
	s_xor_b64 exec, exec, s[6:7]
	s_cbranch_execz .LBB4_204
.LBB4_1228:                             ;   in Loop: Header=BB4_62 Depth=1
	v_cmp_ne_u16_sdwa s[8:9], v33, v62 src0_sel:BYTE_0 src1_sel:DWORD
	s_andn2_b64 s[4:5], s[4:5], exec
	s_and_b64 s[8:9], s[8:9], exec
	v_mov_b32_e32 v32, 0
	s_or_b64 s[4:5], s[4:5], s[8:9]
	s_or_b64 exec, exec, s[6:7]
	s_and_saveexec_b64 s[6:7], s[4:5]
	s_cbranch_execnz .LBB4_205
	s_branch .LBB4_206
.LBB4_1229:                             ;   in Loop: Header=BB4_62 Depth=1
	v_cmp_eq_u16_sdwa s[12:13], v33, s25 src0_sel:BYTE_1 src1_sel:DWORD
	s_mov_b64 s[4:5], -1
                                        ; implicit-def: $sgpr10
	s_and_saveexec_b64 s[8:9], s[12:13]
; %bb.1230:                             ;   in Loop: Header=BB4_62 Depth=1
	s_mov_b32 s10, 0x7f800001
	s_xor_b64 s[4:5], exec, -1
; %bb.1231:                             ;   in Loop: Header=BB4_62 Depth=1
	s_or_b64 exec, exec, s[8:9]
	s_and_b64 s[4:5], s[4:5], exec
	s_or_saveexec_b64 s[6:7], s[6:7]
	v_mov_b32_e32 v67, s10
	s_xor_b64 exec, exec, s[6:7]
	s_cbranch_execz .LBB4_208
.LBB4_1232:                             ;   in Loop: Header=BB4_62 Depth=1
	v_cmp_ne_u16_sdwa s[8:9], v33, v62 src0_sel:BYTE_1 src1_sel:DWORD
	s_andn2_b64 s[4:5], s[4:5], exec
	s_and_b64 s[8:9], s[8:9], exec
	v_mov_b32_e32 v67, 0
	s_or_b64 s[4:5], s[4:5], s[8:9]
	s_or_b64 exec, exec, s[6:7]
	s_and_saveexec_b64 s[6:7], s[4:5]
	s_cbranch_execnz .LBB4_209
	s_branch .LBB4_210
.LBB4_1233:                             ;   in Loop: Header=BB4_62 Depth=1
	v_cmp_eq_u16_e32 vcc, s25, v4
	s_mov_b64 s[4:5], -1
                                        ; implicit-def: $sgpr10
	s_and_saveexec_b64 s[8:9], vcc
; %bb.1234:                             ;   in Loop: Header=BB4_62 Depth=1
	s_mov_b32 s10, 0x7f800001
	s_xor_b64 s[4:5], exec, -1
; %bb.1235:                             ;   in Loop: Header=BB4_62 Depth=1
	s_or_b64 exec, exec, s[8:9]
	s_and_b64 s[4:5], s[4:5], exec
                                        ; implicit-def: $vgpr4
	s_or_saveexec_b64 s[6:7], s[6:7]
	v_mov_b32_e32 v68, s10
	s_xor_b64 exec, exec, s[6:7]
	s_cbranch_execz .LBB4_212
.LBB4_1236:                             ;   in Loop: Header=BB4_62 Depth=1
	v_cmp_ne_u16_e32 vcc, 0, v4
	s_andn2_b64 s[4:5], s[4:5], exec
	s_and_b64 s[8:9], vcc, exec
	v_mov_b32_e32 v68, 0
	s_or_b64 s[4:5], s[4:5], s[8:9]
	s_or_b64 exec, exec, s[6:7]
	s_and_saveexec_b64 s[6:7], s[4:5]
	s_cbranch_execnz .LBB4_213
	s_branch .LBB4_214
.LBB4_1237:                             ;   in Loop: Header=BB4_62 Depth=1
	v_cmp_eq_u16_e32 vcc, s25, v4
	s_mov_b64 s[4:5], -1
                                        ; implicit-def: $sgpr10
	s_and_saveexec_b64 s[8:9], vcc
; %bb.1238:                             ;   in Loop: Header=BB4_62 Depth=1
	s_mov_b32 s10, 0x7f800001
	s_xor_b64 s[4:5], exec, -1
; %bb.1239:                             ;   in Loop: Header=BB4_62 Depth=1
	s_or_b64 exec, exec, s[8:9]
	s_and_b64 s[4:5], s[4:5], exec
	s_or_saveexec_b64 s[6:7], s[6:7]
	v_mov_b32_e32 v69, s10
	s_xor_b64 exec, exec, s[6:7]
	s_cbranch_execz .LBB4_216
.LBB4_1240:                             ;   in Loop: Header=BB4_62 Depth=1
	v_cmp_ne_u16_e32 vcc, 0, v4
	s_andn2_b64 s[4:5], s[4:5], exec
	s_and_b64 s[8:9], vcc, exec
	v_mov_b32_e32 v69, 0
	s_or_b64 s[4:5], s[4:5], s[8:9]
	s_or_b64 exec, exec, s[6:7]
	s_and_saveexec_b64 s[6:7], s[4:5]
	s_cbranch_execnz .LBB4_217
	s_branch .LBB4_218
.LBB4_1241:                             ;   in Loop: Header=BB4_62 Depth=1
	v_cmp_eq_u16_sdwa s[12:13], v34, s25 src0_sel:BYTE_0 src1_sel:DWORD
	s_mov_b64 s[4:5], -1
                                        ; implicit-def: $sgpr10
	s_and_saveexec_b64 s[8:9], s[12:13]
; %bb.1242:                             ;   in Loop: Header=BB4_62 Depth=1
	s_mov_b32 s10, 0x7f800001
	s_xor_b64 s[4:5], exec, -1
; %bb.1243:                             ;   in Loop: Header=BB4_62 Depth=1
	s_or_b64 exec, exec, s[8:9]
	s_and_b64 s[4:5], s[4:5], exec
	s_or_saveexec_b64 s[6:7], s[6:7]
	v_mov_b32_e32 v33, s10
	s_xor_b64 exec, exec, s[6:7]
	s_cbranch_execz .LBB4_220
.LBB4_1244:                             ;   in Loop: Header=BB4_62 Depth=1
	v_cmp_ne_u16_sdwa s[8:9], v34, v62 src0_sel:BYTE_0 src1_sel:DWORD
	s_andn2_b64 s[4:5], s[4:5], exec
	s_and_b64 s[8:9], s[8:9], exec
	v_mov_b32_e32 v33, 0
	s_or_b64 s[4:5], s[4:5], s[8:9]
	s_or_b64 exec, exec, s[6:7]
	s_and_saveexec_b64 s[6:7], s[4:5]
	s_cbranch_execnz .LBB4_221
	s_branch .LBB4_222
.LBB4_1245:                             ;   in Loop: Header=BB4_62 Depth=1
	v_cmp_eq_u16_sdwa s[12:13], v34, s25 src0_sel:BYTE_1 src1_sel:DWORD
	s_mov_b64 s[4:5], -1
                                        ; implicit-def: $sgpr10
	s_and_saveexec_b64 s[8:9], s[12:13]
; %bb.1246:                             ;   in Loop: Header=BB4_62 Depth=1
	s_mov_b32 s10, 0x7f800001
	s_xor_b64 s[4:5], exec, -1
; %bb.1247:                             ;   in Loop: Header=BB4_62 Depth=1
	s_or_b64 exec, exec, s[8:9]
	s_and_b64 s[4:5], s[4:5], exec
	s_or_saveexec_b64 s[6:7], s[6:7]
	v_mov_b32_e32 v70, s10
	s_xor_b64 exec, exec, s[6:7]
	s_cbranch_execz .LBB4_224
.LBB4_1248:                             ;   in Loop: Header=BB4_62 Depth=1
	v_cmp_ne_u16_sdwa s[8:9], v34, v62 src0_sel:BYTE_1 src1_sel:DWORD
	s_andn2_b64 s[4:5], s[4:5], exec
	s_and_b64 s[8:9], s[8:9], exec
	v_mov_b32_e32 v70, 0
	s_or_b64 s[4:5], s[4:5], s[8:9]
	s_or_b64 exec, exec, s[6:7]
	s_and_saveexec_b64 s[6:7], s[4:5]
	s_cbranch_execnz .LBB4_225
	s_branch .LBB4_226
.LBB4_1249:                             ;   in Loop: Header=BB4_62 Depth=1
	v_cmp_eq_u16_e32 vcc, s25, v4
	s_mov_b64 s[4:5], -1
                                        ; implicit-def: $sgpr10
	s_and_saveexec_b64 s[8:9], vcc
; %bb.1250:                             ;   in Loop: Header=BB4_62 Depth=1
	s_mov_b32 s10, 0x7f800001
	s_xor_b64 s[4:5], exec, -1
; %bb.1251:                             ;   in Loop: Header=BB4_62 Depth=1
	s_or_b64 exec, exec, s[8:9]
	s_and_b64 s[4:5], s[4:5], exec
                                        ; implicit-def: $vgpr4
	s_or_saveexec_b64 s[6:7], s[6:7]
	v_mov_b32_e32 v71, s10
	s_xor_b64 exec, exec, s[6:7]
	s_cbranch_execz .LBB4_228
.LBB4_1252:                             ;   in Loop: Header=BB4_62 Depth=1
	v_cmp_ne_u16_e32 vcc, 0, v4
	s_andn2_b64 s[4:5], s[4:5], exec
	s_and_b64 s[8:9], vcc, exec
	v_mov_b32_e32 v71, 0
	s_or_b64 s[4:5], s[4:5], s[8:9]
	s_or_b64 exec, exec, s[6:7]
	s_and_saveexec_b64 s[6:7], s[4:5]
	s_cbranch_execnz .LBB4_229
	s_branch .LBB4_230
.LBB4_1253:                             ;   in Loop: Header=BB4_62 Depth=1
	v_cmp_eq_u16_e32 vcc, s25, v5
	s_mov_b64 s[4:5], -1
                                        ; implicit-def: $sgpr10
	s_and_saveexec_b64 s[8:9], vcc
; %bb.1254:                             ;   in Loop: Header=BB4_62 Depth=1
	s_mov_b32 s10, 0x7f800001
	s_xor_b64 s[4:5], exec, -1
; %bb.1255:                             ;   in Loop: Header=BB4_62 Depth=1
	s_or_b64 exec, exec, s[8:9]
	s_and_b64 s[4:5], s[4:5], exec
	s_or_saveexec_b64 s[6:7], s[6:7]
	v_mov_b32_e32 v4, s10
	s_xor_b64 exec, exec, s[6:7]
	s_cbranch_execz .LBB4_232
.LBB4_1256:                             ;   in Loop: Header=BB4_62 Depth=1
	v_cmp_ne_u16_e32 vcc, 0, v5
	s_andn2_b64 s[4:5], s[4:5], exec
	s_and_b64 s[8:9], vcc, exec
	v_mov_b32_e32 v4, 0
	s_or_b64 s[4:5], s[4:5], s[8:9]
	s_or_b64 exec, exec, s[6:7]
	s_and_saveexec_b64 s[6:7], s[4:5]
	s_cbranch_execnz .LBB4_233
	s_branch .LBB4_234
.LBB4_1257:                             ;   in Loop: Header=BB4_62 Depth=1
	v_cmp_eq_u16_sdwa s[12:13], v35, s25 src0_sel:BYTE_0 src1_sel:DWORD
	s_mov_b64 s[4:5], -1
                                        ; implicit-def: $sgpr10
	s_and_saveexec_b64 s[8:9], s[12:13]
; %bb.1258:                             ;   in Loop: Header=BB4_62 Depth=1
	s_mov_b32 s10, 0x7f800001
	s_xor_b64 s[4:5], exec, -1
; %bb.1259:                             ;   in Loop: Header=BB4_62 Depth=1
	s_or_b64 exec, exec, s[8:9]
	s_and_b64 s[4:5], s[4:5], exec
	s_or_saveexec_b64 s[6:7], s[6:7]
	v_mov_b32_e32 v5, s10
	s_xor_b64 exec, exec, s[6:7]
	s_cbranch_execz .LBB4_236
.LBB4_1260:                             ;   in Loop: Header=BB4_62 Depth=1
	v_cmp_ne_u16_sdwa s[8:9], v35, v62 src0_sel:BYTE_0 src1_sel:DWORD
	s_andn2_b64 s[4:5], s[4:5], exec
	s_and_b64 s[8:9], s[8:9], exec
	v_mov_b32_e32 v5, 0
	s_or_b64 s[4:5], s[4:5], s[8:9]
	s_or_b64 exec, exec, s[6:7]
	s_and_saveexec_b64 s[6:7], s[4:5]
	s_cbranch_execnz .LBB4_237
	s_branch .LBB4_238
.LBB4_1261:                             ;   in Loop: Header=BB4_62 Depth=1
	v_cmp_eq_u16_sdwa s[12:13], v35, s25 src0_sel:BYTE_1 src1_sel:DWORD
	s_mov_b64 s[4:5], -1
                                        ; implicit-def: $sgpr10
	s_and_saveexec_b64 s[8:9], s[12:13]
; %bb.1262:                             ;   in Loop: Header=BB4_62 Depth=1
	s_mov_b32 s10, 0x7f800001
	s_xor_b64 s[4:5], exec, -1
; %bb.1263:                             ;   in Loop: Header=BB4_62 Depth=1
	s_or_b64 exec, exec, s[8:9]
	s_and_b64 s[4:5], s[4:5], exec
	s_or_saveexec_b64 s[6:7], s[6:7]
	v_mov_b32_e32 v6, s10
	s_xor_b64 exec, exec, s[6:7]
	s_cbranch_execz .LBB4_240
.LBB4_1264:                             ;   in Loop: Header=BB4_62 Depth=1
	v_cmp_ne_u16_sdwa s[8:9], v35, v62 src0_sel:BYTE_1 src1_sel:DWORD
	s_andn2_b64 s[4:5], s[4:5], exec
	s_and_b64 s[8:9], s[8:9], exec
	v_mov_b32_e32 v6, 0
	s_or_b64 s[4:5], s[4:5], s[8:9]
	s_or_b64 exec, exec, s[6:7]
	s_and_saveexec_b64 s[6:7], s[4:5]
	s_cbranch_execnz .LBB4_241
	s_branch .LBB4_242
.LBB4_1265:                             ;   in Loop: Header=BB4_62 Depth=1
	v_cmp_eq_u16_e32 vcc, s25, v8
	s_mov_b64 s[4:5], -1
                                        ; implicit-def: $sgpr10
	s_and_saveexec_b64 s[8:9], vcc
; %bb.1266:                             ;   in Loop: Header=BB4_62 Depth=1
	s_mov_b32 s10, 0x7f800001
	s_xor_b64 s[4:5], exec, -1
; %bb.1267:                             ;   in Loop: Header=BB4_62 Depth=1
	s_or_b64 exec, exec, s[8:9]
	s_and_b64 s[4:5], s[4:5], exec
                                        ; implicit-def: $vgpr8
	s_or_saveexec_b64 s[6:7], s[6:7]
	v_mov_b32_e32 v7, s10
	s_xor_b64 exec, exec, s[6:7]
	s_cbranch_execz .LBB4_244
.LBB4_1268:                             ;   in Loop: Header=BB4_62 Depth=1
	v_cmp_ne_u16_e32 vcc, 0, v8
	s_andn2_b64 s[4:5], s[4:5], exec
	s_and_b64 s[8:9], vcc, exec
	v_mov_b32_e32 v7, 0
	s_or_b64 s[4:5], s[4:5], s[8:9]
	s_or_b64 exec, exec, s[6:7]
	s_and_saveexec_b64 s[6:7], s[4:5]
	s_cbranch_execnz .LBB4_245
	s_branch .LBB4_246
.LBB4_1269:                             ;   in Loop: Header=BB4_62 Depth=1
	v_cmp_eq_u16_e32 vcc, s25, v34
	s_mov_b64 s[4:5], -1
                                        ; implicit-def: $sgpr10
	s_and_saveexec_b64 s[8:9], vcc
; %bb.1270:                             ;   in Loop: Header=BB4_62 Depth=1
	s_mov_b32 s10, 0x7f800001
	s_xor_b64 s[4:5], exec, -1
; %bb.1271:                             ;   in Loop: Header=BB4_62 Depth=1
	s_or_b64 exec, exec, s[8:9]
	s_and_b64 s[4:5], s[4:5], exec
	s_or_saveexec_b64 s[6:7], s[6:7]
	v_mov_b32_e32 v80, s10
	s_xor_b64 exec, exec, s[6:7]
	s_cbranch_execz .LBB4_248
.LBB4_1272:                             ;   in Loop: Header=BB4_62 Depth=1
	v_cmp_ne_u16_e32 vcc, 0, v34
	s_andn2_b64 s[4:5], s[4:5], exec
	s_and_b64 s[8:9], vcc, exec
	v_mov_b32_e32 v80, 0
	s_or_b64 s[4:5], s[4:5], s[8:9]
	s_or_b64 exec, exec, s[6:7]
	s_and_saveexec_b64 s[6:7], s[4:5]
	s_cbranch_execnz .LBB4_249
	s_branch .LBB4_250
.LBB4_1273:                             ;   in Loop: Header=BB4_62 Depth=1
	v_cmp_eq_u16_sdwa s[12:13], v32, s25 src0_sel:BYTE_0 src1_sel:DWORD
	s_mov_b64 s[4:5], -1
                                        ; implicit-def: $sgpr10
	s_and_saveexec_b64 s[8:9], s[12:13]
; %bb.1274:                             ;   in Loop: Header=BB4_62 Depth=1
	s_mov_b32 s10, 0x7f800001
	s_xor_b64 s[4:5], exec, -1
; %bb.1275:                             ;   in Loop: Header=BB4_62 Depth=1
	s_or_b64 exec, exec, s[8:9]
	s_and_b64 s[4:5], s[4:5], exec
	s_or_saveexec_b64 s[6:7], s[6:7]
	v_mov_b32_e32 v64, s10
	s_xor_b64 exec, exec, s[6:7]
	s_cbranch_execz .LBB4_252
.LBB4_1276:                             ;   in Loop: Header=BB4_62 Depth=1
	v_cmp_ne_u16_sdwa s[8:9], v32, v62 src0_sel:BYTE_0 src1_sel:DWORD
	s_andn2_b64 s[4:5], s[4:5], exec
	s_and_b64 s[8:9], s[8:9], exec
	v_mov_b32_e32 v64, 0
	s_or_b64 s[4:5], s[4:5], s[8:9]
	s_or_b64 exec, exec, s[6:7]
	s_and_saveexec_b64 s[6:7], s[4:5]
	s_cbranch_execnz .LBB4_253
	s_branch .LBB4_254
.LBB4_1277:                             ;   in Loop: Header=BB4_62 Depth=1
	v_cmp_eq_u16_sdwa s[12:13], v32, s25 src0_sel:BYTE_1 src1_sel:DWORD
	s_mov_b64 s[4:5], -1
                                        ; implicit-def: $sgpr10
	s_and_saveexec_b64 s[8:9], s[12:13]
; %bb.1278:                             ;   in Loop: Header=BB4_62 Depth=1
	s_mov_b32 s10, 0x7f800001
	s_xor_b64 s[4:5], exec, -1
; %bb.1279:                             ;   in Loop: Header=BB4_62 Depth=1
	s_or_b64 exec, exec, s[8:9]
	s_and_b64 s[4:5], s[4:5], exec
	s_or_saveexec_b64 s[6:7], s[6:7]
	v_mov_b32_e32 v66, s10
	s_xor_b64 exec, exec, s[6:7]
	s_cbranch_execz .LBB4_256
.LBB4_1280:                             ;   in Loop: Header=BB4_62 Depth=1
	v_cmp_ne_u16_sdwa s[8:9], v32, v62 src0_sel:BYTE_1 src1_sel:DWORD
	s_andn2_b64 s[4:5], s[4:5], exec
	s_and_b64 s[8:9], s[8:9], exec
	v_mov_b32_e32 v66, 0
	s_or_b64 s[4:5], s[4:5], s[8:9]
	s_or_b64 exec, exec, s[6:7]
	s_and_saveexec_b64 s[6:7], s[4:5]
	s_cbranch_execnz .LBB4_257
	s_branch .LBB4_258
.LBB4_1281:                             ;   in Loop: Header=BB4_62 Depth=1
	v_cmp_eq_u16_e32 vcc, s25, v4
	s_mov_b64 s[4:5], -1
                                        ; implicit-def: $sgpr10
	s_and_saveexec_b64 s[8:9], vcc
; %bb.1282:                             ;   in Loop: Header=BB4_62 Depth=1
	s_mov_b32 s10, 0x7f800001
	s_xor_b64 s[4:5], exec, -1
; %bb.1283:                             ;   in Loop: Header=BB4_62 Depth=1
	s_or_b64 exec, exec, s[8:9]
	s_and_b64 s[4:5], s[4:5], exec
                                        ; implicit-def: $vgpr4
	s_or_saveexec_b64 s[6:7], s[6:7]
	v_mov_b32_e32 v67, s10
	s_xor_b64 exec, exec, s[6:7]
	s_cbranch_execz .LBB4_260
.LBB4_1284:                             ;   in Loop: Header=BB4_62 Depth=1
	v_cmp_ne_u16_e32 vcc, 0, v4
	s_andn2_b64 s[4:5], s[4:5], exec
	s_and_b64 s[8:9], vcc, exec
	v_mov_b32_e32 v67, 0
	s_or_b64 s[4:5], s[4:5], s[8:9]
	s_or_b64 exec, exec, s[6:7]
	s_and_saveexec_b64 s[6:7], s[4:5]
	s_cbranch_execnz .LBB4_261
	s_branch .LBB4_262
.LBB4_1285:                             ;   in Loop: Header=BB4_62 Depth=1
	v_cmp_eq_u16_e32 vcc, s25, v4
	s_mov_b64 s[4:5], -1
                                        ; implicit-def: $sgpr10
	s_and_saveexec_b64 s[8:9], vcc
; %bb.1286:                             ;   in Loop: Header=BB4_62 Depth=1
	s_mov_b32 s10, 0x7f800001
	s_xor_b64 s[4:5], exec, -1
; %bb.1287:                             ;   in Loop: Header=BB4_62 Depth=1
	s_or_b64 exec, exec, s[8:9]
	s_and_b64 s[4:5], s[4:5], exec
	s_or_saveexec_b64 s[6:7], s[6:7]
	v_mov_b32_e32 v68, s10
	s_xor_b64 exec, exec, s[6:7]
	s_cbranch_execz .LBB4_264
.LBB4_1288:                             ;   in Loop: Header=BB4_62 Depth=1
	v_cmp_ne_u16_e32 vcc, 0, v4
	s_andn2_b64 s[4:5], s[4:5], exec
	s_and_b64 s[8:9], vcc, exec
	v_mov_b32_e32 v68, 0
	s_or_b64 s[4:5], s[4:5], s[8:9]
	s_or_b64 exec, exec, s[6:7]
	s_and_saveexec_b64 s[6:7], s[4:5]
	s_cbranch_execnz .LBB4_265
	s_branch .LBB4_266
.LBB4_1289:                             ;   in Loop: Header=BB4_62 Depth=1
	v_cmp_eq_u16_sdwa s[12:13], v33, s25 src0_sel:BYTE_0 src1_sel:DWORD
	s_mov_b64 s[4:5], -1
                                        ; implicit-def: $sgpr10
	s_and_saveexec_b64 s[8:9], s[12:13]
; %bb.1290:                             ;   in Loop: Header=BB4_62 Depth=1
	s_mov_b32 s10, 0x7f800001
	s_xor_b64 s[4:5], exec, -1
; %bb.1291:                             ;   in Loop: Header=BB4_62 Depth=1
	s_or_b64 exec, exec, s[8:9]
	s_and_b64 s[4:5], s[4:5], exec
	s_or_saveexec_b64 s[6:7], s[6:7]
	v_mov_b32_e32 v32, s10
	s_xor_b64 exec, exec, s[6:7]
	s_cbranch_execz .LBB4_268
.LBB4_1292:                             ;   in Loop: Header=BB4_62 Depth=1
	v_cmp_ne_u16_sdwa s[8:9], v33, v62 src0_sel:BYTE_0 src1_sel:DWORD
	s_andn2_b64 s[4:5], s[4:5], exec
	s_and_b64 s[8:9], s[8:9], exec
	v_mov_b32_e32 v32, 0
	s_or_b64 s[4:5], s[4:5], s[8:9]
	s_or_b64 exec, exec, s[6:7]
	s_and_saveexec_b64 s[6:7], s[4:5]
	s_cbranch_execnz .LBB4_269
	s_branch .LBB4_270
.LBB4_1293:                             ;   in Loop: Header=BB4_62 Depth=1
	v_cmp_eq_u16_sdwa s[12:13], v33, s25 src0_sel:BYTE_1 src1_sel:DWORD
	s_mov_b64 s[4:5], -1
                                        ; implicit-def: $sgpr10
	s_and_saveexec_b64 s[8:9], s[12:13]
; %bb.1294:                             ;   in Loop: Header=BB4_62 Depth=1
	s_mov_b32 s10, 0x7f800001
	s_xor_b64 s[4:5], exec, -1
; %bb.1295:                             ;   in Loop: Header=BB4_62 Depth=1
	s_or_b64 exec, exec, s[8:9]
	s_and_b64 s[4:5], s[4:5], exec
	s_or_saveexec_b64 s[6:7], s[6:7]
	v_mov_b32_e32 v69, s10
	s_xor_b64 exec, exec, s[6:7]
	s_cbranch_execz .LBB4_272
.LBB4_1296:                             ;   in Loop: Header=BB4_62 Depth=1
	v_cmp_ne_u16_sdwa s[8:9], v33, v62 src0_sel:BYTE_1 src1_sel:DWORD
	s_andn2_b64 s[4:5], s[4:5], exec
	s_and_b64 s[8:9], s[8:9], exec
	v_mov_b32_e32 v69, 0
	s_or_b64 s[4:5], s[4:5], s[8:9]
	s_or_b64 exec, exec, s[6:7]
	s_and_saveexec_b64 s[6:7], s[4:5]
	s_cbranch_execnz .LBB4_273
	s_branch .LBB4_274
.LBB4_1297:                             ;   in Loop: Header=BB4_62 Depth=1
	v_cmp_eq_u16_e32 vcc, s25, v4
	s_mov_b64 s[4:5], -1
                                        ; implicit-def: $sgpr10
	s_and_saveexec_b64 s[8:9], vcc
; %bb.1298:                             ;   in Loop: Header=BB4_62 Depth=1
	s_mov_b32 s10, 0x7f800001
	s_xor_b64 s[4:5], exec, -1
; %bb.1299:                             ;   in Loop: Header=BB4_62 Depth=1
	s_or_b64 exec, exec, s[8:9]
	s_and_b64 s[4:5], s[4:5], exec
                                        ; implicit-def: $vgpr4
	s_or_saveexec_b64 s[6:7], s[6:7]
	v_mov_b32_e32 v70, s10
	s_xor_b64 exec, exec, s[6:7]
	s_cbranch_execz .LBB4_276
.LBB4_1300:                             ;   in Loop: Header=BB4_62 Depth=1
	v_cmp_ne_u16_e32 vcc, 0, v4
	s_andn2_b64 s[4:5], s[4:5], exec
	s_and_b64 s[8:9], vcc, exec
	v_mov_b32_e32 v70, 0
	s_or_b64 s[4:5], s[4:5], s[8:9]
	s_or_b64 exec, exec, s[6:7]
	s_and_saveexec_b64 s[6:7], s[4:5]
	s_cbranch_execnz .LBB4_277
	s_branch .LBB4_278
.LBB4_1301:                             ;   in Loop: Header=BB4_62 Depth=1
	v_cmp_eq_u16_e32 vcc, s25, v4
	s_mov_b64 s[4:5], -1
                                        ; implicit-def: $sgpr10
	s_and_saveexec_b64 s[8:9], vcc
; %bb.1302:                             ;   in Loop: Header=BB4_62 Depth=1
	s_mov_b32 s10, 0x7f800001
	s_xor_b64 s[4:5], exec, -1
; %bb.1303:                             ;   in Loop: Header=BB4_62 Depth=1
	s_or_b64 exec, exec, s[8:9]
	s_and_b64 s[4:5], s[4:5], exec
	s_or_saveexec_b64 s[6:7], s[6:7]
	v_mov_b32_e32 v71, s10
	s_xor_b64 exec, exec, s[6:7]
	s_cbranch_execz .LBB4_280
.LBB4_1304:                             ;   in Loop: Header=BB4_62 Depth=1
	v_cmp_ne_u16_e32 vcc, 0, v4
	s_andn2_b64 s[4:5], s[4:5], exec
	s_and_b64 s[8:9], vcc, exec
	v_mov_b32_e32 v71, 0
	s_or_b64 s[4:5], s[4:5], s[8:9]
	s_or_b64 exec, exec, s[6:7]
	s_and_saveexec_b64 s[6:7], s[4:5]
	s_cbranch_execnz .LBB4_281
	s_branch .LBB4_282
.LBB4_1305:                             ;   in Loop: Header=BB4_62 Depth=1
	v_cmp_eq_u16_sdwa s[12:13], v34, s25 src0_sel:BYTE_0 src1_sel:DWORD
	s_mov_b64 s[4:5], -1
                                        ; implicit-def: $sgpr10
	s_and_saveexec_b64 s[8:9], s[12:13]
; %bb.1306:                             ;   in Loop: Header=BB4_62 Depth=1
	s_mov_b32 s10, 0x7f800001
	s_xor_b64 s[4:5], exec, -1
; %bb.1307:                             ;   in Loop: Header=BB4_62 Depth=1
	s_or_b64 exec, exec, s[8:9]
	s_and_b64 s[4:5], s[4:5], exec
	s_or_saveexec_b64 s[6:7], s[6:7]
	v_mov_b32_e32 v33, s10
	s_xor_b64 exec, exec, s[6:7]
	s_cbranch_execz .LBB4_284
.LBB4_1308:                             ;   in Loop: Header=BB4_62 Depth=1
	v_cmp_ne_u16_sdwa s[8:9], v34, v62 src0_sel:BYTE_0 src1_sel:DWORD
	s_andn2_b64 s[4:5], s[4:5], exec
	s_and_b64 s[8:9], s[8:9], exec
	v_mov_b32_e32 v33, 0
	s_or_b64 s[4:5], s[4:5], s[8:9]
	s_or_b64 exec, exec, s[6:7]
	s_and_saveexec_b64 s[6:7], s[4:5]
	s_cbranch_execnz .LBB4_285
	s_branch .LBB4_286
.LBB4_1309:                             ;   in Loop: Header=BB4_62 Depth=1
	v_cmp_eq_u16_sdwa s[12:13], v34, s25 src0_sel:BYTE_1 src1_sel:DWORD
	s_mov_b64 s[4:5], -1
                                        ; implicit-def: $sgpr10
	s_and_saveexec_b64 s[8:9], s[12:13]
; %bb.1310:                             ;   in Loop: Header=BB4_62 Depth=1
	s_mov_b32 s10, 0x7f800001
	s_xor_b64 s[4:5], exec, -1
; %bb.1311:                             ;   in Loop: Header=BB4_62 Depth=1
	s_or_b64 exec, exec, s[8:9]
	s_and_b64 s[4:5], s[4:5], exec
	s_or_saveexec_b64 s[6:7], s[6:7]
	v_mov_b32_e32 v80, s10
	s_xor_b64 exec, exec, s[6:7]
	s_cbranch_execz .LBB4_288
.LBB4_1312:                             ;   in Loop: Header=BB4_62 Depth=1
	v_cmp_ne_u16_sdwa s[8:9], v34, v62 src0_sel:BYTE_1 src1_sel:DWORD
	s_andn2_b64 s[4:5], s[4:5], exec
	s_and_b64 s[8:9], s[8:9], exec
	v_mov_b32_e32 v80, 0
	s_or_b64 s[4:5], s[4:5], s[8:9]
	s_or_b64 exec, exec, s[6:7]
	s_and_saveexec_b64 s[6:7], s[4:5]
	s_cbranch_execnz .LBB4_289
	s_branch .LBB4_290
.LBB4_1313:                             ;   in Loop: Header=BB4_62 Depth=1
	v_cmp_eq_u16_e32 vcc, s25, v4
	s_mov_b64 s[4:5], -1
                                        ; implicit-def: $sgpr10
	s_and_saveexec_b64 s[8:9], vcc
; %bb.1314:                             ;   in Loop: Header=BB4_62 Depth=1
	s_mov_b32 s10, 0x7f800001
	s_xor_b64 s[4:5], exec, -1
; %bb.1315:                             ;   in Loop: Header=BB4_62 Depth=1
	s_or_b64 exec, exec, s[8:9]
	s_and_b64 s[4:5], s[4:5], exec
                                        ; implicit-def: $vgpr4
	s_or_saveexec_b64 s[6:7], s[6:7]
	v_mov_b32_e32 v81, s10
	s_xor_b64 exec, exec, s[6:7]
	s_cbranch_execz .LBB4_292
.LBB4_1316:                             ;   in Loop: Header=BB4_62 Depth=1
	v_cmp_ne_u16_e32 vcc, 0, v4
	s_andn2_b64 s[4:5], s[4:5], exec
	s_and_b64 s[8:9], vcc, exec
	v_mov_b32_e32 v81, 0
	s_or_b64 s[4:5], s[4:5], s[8:9]
	s_or_b64 exec, exec, s[6:7]
	s_and_saveexec_b64 s[6:7], s[4:5]
	s_cbranch_execnz .LBB4_293
	s_branch .LBB4_294
.LBB4_1317:                             ;   in Loop: Header=BB4_62 Depth=1
	v_cmp_eq_u16_e32 vcc, s25, v5
	s_mov_b64 s[4:5], -1
                                        ; implicit-def: $sgpr10
	s_and_saveexec_b64 s[8:9], vcc
; %bb.1318:                             ;   in Loop: Header=BB4_62 Depth=1
	s_mov_b32 s10, 0x7f800001
	s_xor_b64 s[4:5], exec, -1
; %bb.1319:                             ;   in Loop: Header=BB4_62 Depth=1
	s_or_b64 exec, exec, s[8:9]
	s_and_b64 s[4:5], s[4:5], exec
	s_or_saveexec_b64 s[6:7], s[6:7]
	v_mov_b32_e32 v4, s10
	s_xor_b64 exec, exec, s[6:7]
	s_cbranch_execz .LBB4_296
.LBB4_1320:                             ;   in Loop: Header=BB4_62 Depth=1
	v_cmp_ne_u16_e32 vcc, 0, v5
	s_andn2_b64 s[4:5], s[4:5], exec
	s_and_b64 s[8:9], vcc, exec
	v_mov_b32_e32 v4, 0
	s_or_b64 s[4:5], s[4:5], s[8:9]
	s_or_b64 exec, exec, s[6:7]
	s_and_saveexec_b64 s[6:7], s[4:5]
	s_cbranch_execnz .LBB4_297
	s_branch .LBB4_298
.LBB4_1321:                             ;   in Loop: Header=BB4_62 Depth=1
	v_cmp_eq_u16_sdwa s[12:13], v35, s25 src0_sel:BYTE_0 src1_sel:DWORD
	s_mov_b64 s[4:5], -1
                                        ; implicit-def: $sgpr10
	s_and_saveexec_b64 s[8:9], s[12:13]
; %bb.1322:                             ;   in Loop: Header=BB4_62 Depth=1
	s_mov_b32 s10, 0x7f800001
	s_xor_b64 s[4:5], exec, -1
; %bb.1323:                             ;   in Loop: Header=BB4_62 Depth=1
	s_or_b64 exec, exec, s[8:9]
	s_and_b64 s[4:5], s[4:5], exec
	s_or_saveexec_b64 s[6:7], s[6:7]
	v_mov_b32_e32 v5, s10
	s_xor_b64 exec, exec, s[6:7]
	s_cbranch_execz .LBB4_300
.LBB4_1324:                             ;   in Loop: Header=BB4_62 Depth=1
	v_cmp_ne_u16_sdwa s[8:9], v35, v62 src0_sel:BYTE_0 src1_sel:DWORD
	s_andn2_b64 s[4:5], s[4:5], exec
	s_and_b64 s[8:9], s[8:9], exec
	v_mov_b32_e32 v5, 0
	s_or_b64 s[4:5], s[4:5], s[8:9]
	s_or_b64 exec, exec, s[6:7]
	s_and_saveexec_b64 s[6:7], s[4:5]
	s_cbranch_execnz .LBB4_301
	s_branch .LBB4_302
.LBB4_1325:                             ;   in Loop: Header=BB4_62 Depth=1
	v_cmp_eq_u16_sdwa s[12:13], v35, s25 src0_sel:BYTE_1 src1_sel:DWORD
	s_mov_b64 s[4:5], -1
                                        ; implicit-def: $sgpr10
	s_and_saveexec_b64 s[8:9], s[12:13]
; %bb.1326:                             ;   in Loop: Header=BB4_62 Depth=1
	s_mov_b32 s10, 0x7f800001
	s_xor_b64 s[4:5], exec, -1
; %bb.1327:                             ;   in Loop: Header=BB4_62 Depth=1
	s_or_b64 exec, exec, s[8:9]
	s_and_b64 s[4:5], s[4:5], exec
	s_or_saveexec_b64 s[6:7], s[6:7]
	v_mov_b32_e32 v6, s10
	s_xor_b64 exec, exec, s[6:7]
	s_cbranch_execz .LBB4_304
.LBB4_1328:                             ;   in Loop: Header=BB4_62 Depth=1
	v_cmp_ne_u16_sdwa s[8:9], v35, v62 src0_sel:BYTE_1 src1_sel:DWORD
	s_andn2_b64 s[4:5], s[4:5], exec
	s_and_b64 s[8:9], s[8:9], exec
	v_mov_b32_e32 v6, 0
	s_or_b64 s[4:5], s[4:5], s[8:9]
	s_or_b64 exec, exec, s[6:7]
	s_and_saveexec_b64 s[6:7], s[4:5]
	s_cbranch_execnz .LBB4_305
	s_branch .LBB4_306
.LBB4_1329:                             ;   in Loop: Header=BB4_62 Depth=1
	v_cmp_eq_u16_e32 vcc, s25, v8
	s_mov_b64 s[4:5], -1
                                        ; implicit-def: $sgpr10
	s_and_saveexec_b64 s[8:9], vcc
; %bb.1330:                             ;   in Loop: Header=BB4_62 Depth=1
	s_mov_b32 s10, 0x7f800001
	s_xor_b64 s[4:5], exec, -1
; %bb.1331:                             ;   in Loop: Header=BB4_62 Depth=1
	s_or_b64 exec, exec, s[8:9]
	s_and_b64 s[4:5], s[4:5], exec
                                        ; implicit-def: $vgpr8
	s_or_saveexec_b64 s[6:7], s[6:7]
	v_mov_b32_e32 v7, s10
	s_xor_b64 exec, exec, s[6:7]
	s_cbranch_execz .LBB4_308
.LBB4_1332:                             ;   in Loop: Header=BB4_62 Depth=1
	v_cmp_ne_u16_e32 vcc, 0, v8
	s_andn2_b64 s[4:5], s[4:5], exec
	s_and_b64 s[8:9], vcc, exec
	v_mov_b32_e32 v7, 0
	s_or_b64 s[4:5], s[4:5], s[8:9]
	s_or_b64 exec, exec, s[6:7]
	s_and_saveexec_b64 s[6:7], s[4:5]
	s_cbranch_execnz .LBB4_309
	s_branch .LBB4_310
.LBB4_1333:                             ;   in Loop: Header=BB4_62 Depth=1
	v_cmp_eq_u16_e32 vcc, s25, v34
	s_mov_b64 s[4:5], -1
                                        ; implicit-def: $sgpr10
	s_and_saveexec_b64 s[8:9], vcc
; %bb.1334:                             ;   in Loop: Header=BB4_62 Depth=1
	s_mov_b32 s10, 0x7f800001
	s_xor_b64 s[4:5], exec, -1
; %bb.1335:                             ;   in Loop: Header=BB4_62 Depth=1
	s_or_b64 exec, exec, s[8:9]
	s_and_b64 s[4:5], s[4:5], exec
	s_or_saveexec_b64 s[6:7], s[6:7]
	v_mov_b32_e32 v82, s10
	s_xor_b64 exec, exec, s[6:7]
	s_cbranch_execz .LBB4_312
.LBB4_1336:                             ;   in Loop: Header=BB4_62 Depth=1
	v_cmp_ne_u16_e32 vcc, 0, v34
	s_andn2_b64 s[4:5], s[4:5], exec
	s_and_b64 s[8:9], vcc, exec
	v_mov_b32_e32 v82, 0
	s_or_b64 s[4:5], s[4:5], s[8:9]
	s_or_b64 exec, exec, s[6:7]
	s_and_saveexec_b64 s[6:7], s[4:5]
	s_cbranch_execnz .LBB4_313
	s_branch .LBB4_314
.LBB4_1337:                             ;   in Loop: Header=BB4_62 Depth=1
	v_cmp_eq_u16_sdwa s[12:13], v32, s25 src0_sel:BYTE_0 src1_sel:DWORD
	s_mov_b64 s[4:5], -1
                                        ; implicit-def: $sgpr10
	s_and_saveexec_b64 s[8:9], s[12:13]
; %bb.1338:                             ;   in Loop: Header=BB4_62 Depth=1
	s_mov_b32 s10, 0x7f800001
	s_xor_b64 s[4:5], exec, -1
; %bb.1339:                             ;   in Loop: Header=BB4_62 Depth=1
	s_or_b64 exec, exec, s[8:9]
	s_and_b64 s[4:5], s[4:5], exec
	s_or_saveexec_b64 s[6:7], s[6:7]
	v_mov_b32_e32 v52, s10
	s_xor_b64 exec, exec, s[6:7]
	s_cbranch_execz .LBB4_316
.LBB4_1340:                             ;   in Loop: Header=BB4_62 Depth=1
	v_cmp_ne_u16_sdwa s[8:9], v32, v62 src0_sel:BYTE_0 src1_sel:DWORD
	s_andn2_b64 s[4:5], s[4:5], exec
	s_and_b64 s[8:9], s[8:9], exec
	v_mov_b32_e32 v52, 0
	s_or_b64 s[4:5], s[4:5], s[8:9]
	s_or_b64 exec, exec, s[6:7]
	s_and_saveexec_b64 s[6:7], s[4:5]
	s_cbranch_execnz .LBB4_317
	s_branch .LBB4_318
.LBB4_1341:                             ;   in Loop: Header=BB4_62 Depth=1
	v_cmp_eq_u16_sdwa s[12:13], v32, s25 src0_sel:BYTE_1 src1_sel:DWORD
	s_mov_b64 s[4:5], -1
                                        ; implicit-def: $sgpr10
	s_and_saveexec_b64 s[8:9], s[12:13]
; %bb.1342:                             ;   in Loop: Header=BB4_62 Depth=1
	s_mov_b32 s10, 0x7f800001
	s_xor_b64 s[4:5], exec, -1
; %bb.1343:                             ;   in Loop: Header=BB4_62 Depth=1
	s_or_b64 exec, exec, s[8:9]
	s_and_b64 s[4:5], s[4:5], exec
	s_or_saveexec_b64 s[6:7], s[6:7]
	v_mov_b32_e32 v53, s10
	s_xor_b64 exec, exec, s[6:7]
	s_cbranch_execz .LBB4_320
.LBB4_1344:                             ;   in Loop: Header=BB4_62 Depth=1
	v_cmp_ne_u16_sdwa s[8:9], v32, v62 src0_sel:BYTE_1 src1_sel:DWORD
	s_andn2_b64 s[4:5], s[4:5], exec
	s_and_b64 s[8:9], s[8:9], exec
	v_mov_b32_e32 v53, 0
	s_or_b64 s[4:5], s[4:5], s[8:9]
	s_or_b64 exec, exec, s[6:7]
	s_and_saveexec_b64 s[6:7], s[4:5]
	s_cbranch_execnz .LBB4_321
	s_branch .LBB4_322
.LBB4_1345:                             ;   in Loop: Header=BB4_62 Depth=1
	v_cmp_eq_u16_e32 vcc, s25, v4
	s_mov_b64 s[4:5], -1
                                        ; implicit-def: $sgpr10
	s_and_saveexec_b64 s[8:9], vcc
; %bb.1346:                             ;   in Loop: Header=BB4_62 Depth=1
	s_mov_b32 s10, 0x7f800001
	s_xor_b64 s[4:5], exec, -1
; %bb.1347:                             ;   in Loop: Header=BB4_62 Depth=1
	s_or_b64 exec, exec, s[8:9]
	s_and_b64 s[4:5], s[4:5], exec
                                        ; implicit-def: $vgpr4
	s_or_saveexec_b64 s[6:7], s[6:7]
	v_mov_b32_e32 v65, s10
	s_xor_b64 exec, exec, s[6:7]
	s_cbranch_execz .LBB4_324
.LBB4_1348:                             ;   in Loop: Header=BB4_62 Depth=1
	v_cmp_ne_u16_e32 vcc, 0, v4
	s_andn2_b64 s[4:5], s[4:5], exec
	s_and_b64 s[8:9], vcc, exec
	v_mov_b32_e32 v65, 0
	s_or_b64 s[4:5], s[4:5], s[8:9]
	s_or_b64 exec, exec, s[6:7]
	s_and_saveexec_b64 s[6:7], s[4:5]
	s_cbranch_execnz .LBB4_325
	s_branch .LBB4_326
.LBB4_1349:                             ;   in Loop: Header=BB4_62 Depth=1
	v_cmp_eq_u16_e32 vcc, s25, v4
	s_mov_b64 s[4:5], -1
                                        ; implicit-def: $sgpr10
	s_and_saveexec_b64 s[8:9], vcc
; %bb.1350:                             ;   in Loop: Header=BB4_62 Depth=1
	s_mov_b32 s10, 0x7f800001
	s_xor_b64 s[4:5], exec, -1
; %bb.1351:                             ;   in Loop: Header=BB4_62 Depth=1
	s_or_b64 exec, exec, s[8:9]
	s_and_b64 s[4:5], s[4:5], exec
	s_or_saveexec_b64 s[6:7], s[6:7]
	v_mov_b32_e32 v66, s10
	s_xor_b64 exec, exec, s[6:7]
	s_cbranch_execz .LBB4_328
.LBB4_1352:                             ;   in Loop: Header=BB4_62 Depth=1
	v_cmp_ne_u16_e32 vcc, 0, v4
	s_andn2_b64 s[4:5], s[4:5], exec
	s_and_b64 s[8:9], vcc, exec
	v_mov_b32_e32 v66, 0
	s_or_b64 s[4:5], s[4:5], s[8:9]
	s_or_b64 exec, exec, s[6:7]
	s_and_saveexec_b64 s[6:7], s[4:5]
	s_cbranch_execnz .LBB4_329
	s_branch .LBB4_330
.LBB4_1353:                             ;   in Loop: Header=BB4_62 Depth=1
	v_cmp_eq_u16_sdwa s[12:13], v33, s25 src0_sel:BYTE_0 src1_sel:DWORD
	s_mov_b64 s[4:5], -1
                                        ; implicit-def: $sgpr10
	s_and_saveexec_b64 s[8:9], s[12:13]
; %bb.1354:                             ;   in Loop: Header=BB4_62 Depth=1
	s_mov_b32 s10, 0x7f800001
	s_xor_b64 s[4:5], exec, -1
; %bb.1355:                             ;   in Loop: Header=BB4_62 Depth=1
	s_or_b64 exec, exec, s[8:9]
	s_and_b64 s[4:5], s[4:5], exec
	s_or_saveexec_b64 s[6:7], s[6:7]
	v_mov_b32_e32 v32, s10
	s_xor_b64 exec, exec, s[6:7]
	s_cbranch_execz .LBB4_332
.LBB4_1356:                             ;   in Loop: Header=BB4_62 Depth=1
	v_cmp_ne_u16_sdwa s[8:9], v33, v62 src0_sel:BYTE_0 src1_sel:DWORD
	s_andn2_b64 s[4:5], s[4:5], exec
	s_and_b64 s[8:9], s[8:9], exec
	v_mov_b32_e32 v32, 0
	s_or_b64 s[4:5], s[4:5], s[8:9]
	s_or_b64 exec, exec, s[6:7]
	s_and_saveexec_b64 s[6:7], s[4:5]
	s_cbranch_execnz .LBB4_333
	s_branch .LBB4_334
.LBB4_1357:                             ;   in Loop: Header=BB4_62 Depth=1
	v_cmp_eq_u16_sdwa s[12:13], v33, s25 src0_sel:BYTE_1 src1_sel:DWORD
	s_mov_b64 s[4:5], -1
                                        ; implicit-def: $sgpr10
	s_and_saveexec_b64 s[8:9], s[12:13]
; %bb.1358:                             ;   in Loop: Header=BB4_62 Depth=1
	s_mov_b32 s10, 0x7f800001
	s_xor_b64 s[4:5], exec, -1
; %bb.1359:                             ;   in Loop: Header=BB4_62 Depth=1
	s_or_b64 exec, exec, s[8:9]
	s_and_b64 s[4:5], s[4:5], exec
	s_or_saveexec_b64 s[6:7], s[6:7]
	v_mov_b32_e32 v67, s10
	s_xor_b64 exec, exec, s[6:7]
	s_cbranch_execz .LBB4_336
.LBB4_1360:                             ;   in Loop: Header=BB4_62 Depth=1
	v_cmp_ne_u16_sdwa s[8:9], v33, v62 src0_sel:BYTE_1 src1_sel:DWORD
	s_andn2_b64 s[4:5], s[4:5], exec
	s_and_b64 s[8:9], s[8:9], exec
	v_mov_b32_e32 v67, 0
	s_or_b64 s[4:5], s[4:5], s[8:9]
	s_or_b64 exec, exec, s[6:7]
	s_and_saveexec_b64 s[6:7], s[4:5]
	s_cbranch_execnz .LBB4_337
	s_branch .LBB4_338
.LBB4_1361:                             ;   in Loop: Header=BB4_62 Depth=1
	v_cmp_eq_u16_e32 vcc, s25, v4
	s_mov_b64 s[4:5], -1
                                        ; implicit-def: $sgpr10
	s_and_saveexec_b64 s[8:9], vcc
; %bb.1362:                             ;   in Loop: Header=BB4_62 Depth=1
	s_mov_b32 s10, 0x7f800001
	s_xor_b64 s[4:5], exec, -1
; %bb.1363:                             ;   in Loop: Header=BB4_62 Depth=1
	s_or_b64 exec, exec, s[8:9]
	s_and_b64 s[4:5], s[4:5], exec
                                        ; implicit-def: $vgpr4
	s_or_saveexec_b64 s[6:7], s[6:7]
	v_mov_b32_e32 v68, s10
	s_xor_b64 exec, exec, s[6:7]
	s_cbranch_execz .LBB4_340
.LBB4_1364:                             ;   in Loop: Header=BB4_62 Depth=1
	v_cmp_ne_u16_e32 vcc, 0, v4
	s_andn2_b64 s[4:5], s[4:5], exec
	s_and_b64 s[8:9], vcc, exec
	v_mov_b32_e32 v68, 0
	s_or_b64 s[4:5], s[4:5], s[8:9]
	s_or_b64 exec, exec, s[6:7]
	s_and_saveexec_b64 s[6:7], s[4:5]
	s_cbranch_execnz .LBB4_341
	s_branch .LBB4_342
.LBB4_1365:                             ;   in Loop: Header=BB4_62 Depth=1
	v_cmp_eq_u16_e32 vcc, s25, v4
	s_mov_b64 s[4:5], -1
                                        ; implicit-def: $sgpr10
	s_and_saveexec_b64 s[8:9], vcc
; %bb.1366:                             ;   in Loop: Header=BB4_62 Depth=1
	s_mov_b32 s10, 0x7f800001
	s_xor_b64 s[4:5], exec, -1
; %bb.1367:                             ;   in Loop: Header=BB4_62 Depth=1
	s_or_b64 exec, exec, s[8:9]
	s_and_b64 s[4:5], s[4:5], exec
	s_or_saveexec_b64 s[6:7], s[6:7]
	v_mov_b32_e32 v69, s10
	s_xor_b64 exec, exec, s[6:7]
	s_cbranch_execz .LBB4_344
.LBB4_1368:                             ;   in Loop: Header=BB4_62 Depth=1
	v_cmp_ne_u16_e32 vcc, 0, v4
	s_andn2_b64 s[4:5], s[4:5], exec
	s_and_b64 s[8:9], vcc, exec
	v_mov_b32_e32 v69, 0
	s_or_b64 s[4:5], s[4:5], s[8:9]
	s_or_b64 exec, exec, s[6:7]
	s_and_saveexec_b64 s[6:7], s[4:5]
	s_cbranch_execnz .LBB4_345
	s_branch .LBB4_346
.LBB4_1369:                             ;   in Loop: Header=BB4_62 Depth=1
	v_cmp_eq_u16_sdwa s[12:13], v34, s25 src0_sel:BYTE_0 src1_sel:DWORD
	s_mov_b64 s[4:5], -1
                                        ; implicit-def: $sgpr10
	s_and_saveexec_b64 s[8:9], s[12:13]
; %bb.1370:                             ;   in Loop: Header=BB4_62 Depth=1
	s_mov_b32 s10, 0x7f800001
	s_xor_b64 s[4:5], exec, -1
; %bb.1371:                             ;   in Loop: Header=BB4_62 Depth=1
	s_or_b64 exec, exec, s[8:9]
	s_and_b64 s[4:5], s[4:5], exec
	s_or_saveexec_b64 s[6:7], s[6:7]
	v_mov_b32_e32 v33, s10
	s_xor_b64 exec, exec, s[6:7]
	s_cbranch_execz .LBB4_348
.LBB4_1372:                             ;   in Loop: Header=BB4_62 Depth=1
	v_cmp_ne_u16_sdwa s[8:9], v34, v62 src0_sel:BYTE_0 src1_sel:DWORD
	s_andn2_b64 s[4:5], s[4:5], exec
	s_and_b64 s[8:9], s[8:9], exec
	v_mov_b32_e32 v33, 0
	s_or_b64 s[4:5], s[4:5], s[8:9]
	s_or_b64 exec, exec, s[6:7]
	s_and_saveexec_b64 s[6:7], s[4:5]
	s_cbranch_execnz .LBB4_349
	s_branch .LBB4_350
.LBB4_1373:                             ;   in Loop: Header=BB4_62 Depth=1
	v_cmp_eq_u16_sdwa s[12:13], v34, s25 src0_sel:BYTE_1 src1_sel:DWORD
	s_mov_b64 s[4:5], -1
                                        ; implicit-def: $sgpr10
	s_and_saveexec_b64 s[8:9], s[12:13]
; %bb.1374:                             ;   in Loop: Header=BB4_62 Depth=1
	s_mov_b32 s10, 0x7f800001
	s_xor_b64 s[4:5], exec, -1
; %bb.1375:                             ;   in Loop: Header=BB4_62 Depth=1
	s_or_b64 exec, exec, s[8:9]
	s_and_b64 s[4:5], s[4:5], exec
	s_or_saveexec_b64 s[6:7], s[6:7]
	v_mov_b32_e32 v70, s10
	s_xor_b64 exec, exec, s[6:7]
	s_cbranch_execz .LBB4_352
.LBB4_1376:                             ;   in Loop: Header=BB4_62 Depth=1
	v_cmp_ne_u16_sdwa s[8:9], v34, v62 src0_sel:BYTE_1 src1_sel:DWORD
	s_andn2_b64 s[4:5], s[4:5], exec
	s_and_b64 s[8:9], s[8:9], exec
	v_mov_b32_e32 v70, 0
	s_or_b64 s[4:5], s[4:5], s[8:9]
	s_or_b64 exec, exec, s[6:7]
	s_and_saveexec_b64 s[6:7], s[4:5]
	s_cbranch_execnz .LBB4_353
	s_branch .LBB4_354
.LBB4_1377:                             ;   in Loop: Header=BB4_62 Depth=1
	v_cmp_eq_u16_e32 vcc, s25, v4
	s_mov_b64 s[4:5], -1
                                        ; implicit-def: $sgpr10
	s_and_saveexec_b64 s[8:9], vcc
; %bb.1378:                             ;   in Loop: Header=BB4_62 Depth=1
	s_mov_b32 s10, 0x7f800001
	s_xor_b64 s[4:5], exec, -1
; %bb.1379:                             ;   in Loop: Header=BB4_62 Depth=1
	s_or_b64 exec, exec, s[8:9]
	s_and_b64 s[4:5], s[4:5], exec
                                        ; implicit-def: $vgpr4
	s_or_saveexec_b64 s[6:7], s[6:7]
	v_mov_b32_e32 v71, s10
	s_xor_b64 exec, exec, s[6:7]
	s_cbranch_execz .LBB4_356
.LBB4_1380:                             ;   in Loop: Header=BB4_62 Depth=1
	v_cmp_ne_u16_e32 vcc, 0, v4
	s_andn2_b64 s[4:5], s[4:5], exec
	s_and_b64 s[8:9], vcc, exec
	v_mov_b32_e32 v71, 0
	s_or_b64 s[4:5], s[4:5], s[8:9]
	s_or_b64 exec, exec, s[6:7]
	s_and_saveexec_b64 s[6:7], s[4:5]
	s_cbranch_execnz .LBB4_357
	s_branch .LBB4_358
.LBB4_1381:                             ;   in Loop: Header=BB4_62 Depth=1
	v_cmp_eq_u16_e32 vcc, s25, v5
	s_mov_b64 s[4:5], -1
                                        ; implicit-def: $sgpr10
	s_and_saveexec_b64 s[8:9], vcc
; %bb.1382:                             ;   in Loop: Header=BB4_62 Depth=1
	s_mov_b32 s10, 0x7f800001
	s_xor_b64 s[4:5], exec, -1
; %bb.1383:                             ;   in Loop: Header=BB4_62 Depth=1
	s_or_b64 exec, exec, s[8:9]
	s_and_b64 s[4:5], s[4:5], exec
	s_or_saveexec_b64 s[6:7], s[6:7]
	v_mov_b32_e32 v4, s10
	s_xor_b64 exec, exec, s[6:7]
	s_cbranch_execz .LBB4_360
.LBB4_1384:                             ;   in Loop: Header=BB4_62 Depth=1
	v_cmp_ne_u16_e32 vcc, 0, v5
	s_andn2_b64 s[4:5], s[4:5], exec
	s_and_b64 s[8:9], vcc, exec
	v_mov_b32_e32 v4, 0
	s_or_b64 s[4:5], s[4:5], s[8:9]
	s_or_b64 exec, exec, s[6:7]
	s_and_saveexec_b64 s[6:7], s[4:5]
	s_cbranch_execnz .LBB4_361
	s_branch .LBB4_362
.LBB4_1385:                             ;   in Loop: Header=BB4_62 Depth=1
	v_cmp_eq_u16_sdwa s[12:13], v35, s25 src0_sel:BYTE_0 src1_sel:DWORD
	s_mov_b64 s[4:5], -1
                                        ; implicit-def: $sgpr10
	s_and_saveexec_b64 s[8:9], s[12:13]
; %bb.1386:                             ;   in Loop: Header=BB4_62 Depth=1
	s_mov_b32 s10, 0x7f800001
	s_xor_b64 s[4:5], exec, -1
; %bb.1387:                             ;   in Loop: Header=BB4_62 Depth=1
	s_or_b64 exec, exec, s[8:9]
	s_and_b64 s[4:5], s[4:5], exec
	s_or_saveexec_b64 s[6:7], s[6:7]
	v_mov_b32_e32 v5, s10
	s_xor_b64 exec, exec, s[6:7]
	s_cbranch_execz .LBB4_364
.LBB4_1388:                             ;   in Loop: Header=BB4_62 Depth=1
	v_cmp_ne_u16_sdwa s[8:9], v35, v62 src0_sel:BYTE_0 src1_sel:DWORD
	s_andn2_b64 s[4:5], s[4:5], exec
	s_and_b64 s[8:9], s[8:9], exec
	v_mov_b32_e32 v5, 0
	s_or_b64 s[4:5], s[4:5], s[8:9]
	s_or_b64 exec, exec, s[6:7]
	s_and_saveexec_b64 s[6:7], s[4:5]
	s_cbranch_execnz .LBB4_365
	s_branch .LBB4_366
.LBB4_1389:                             ;   in Loop: Header=BB4_62 Depth=1
	v_cmp_eq_u16_sdwa s[12:13], v35, s25 src0_sel:BYTE_1 src1_sel:DWORD
	s_mov_b64 s[4:5], -1
                                        ; implicit-def: $sgpr10
	s_and_saveexec_b64 s[8:9], s[12:13]
; %bb.1390:                             ;   in Loop: Header=BB4_62 Depth=1
	s_mov_b32 s10, 0x7f800001
	s_xor_b64 s[4:5], exec, -1
; %bb.1391:                             ;   in Loop: Header=BB4_62 Depth=1
	s_or_b64 exec, exec, s[8:9]
	s_and_b64 s[4:5], s[4:5], exec
	s_or_saveexec_b64 s[6:7], s[6:7]
	v_mov_b32_e32 v6, s10
	s_xor_b64 exec, exec, s[6:7]
	s_cbranch_execz .LBB4_368
.LBB4_1392:                             ;   in Loop: Header=BB4_62 Depth=1
	v_cmp_ne_u16_sdwa s[8:9], v35, v62 src0_sel:BYTE_1 src1_sel:DWORD
	s_andn2_b64 s[4:5], s[4:5], exec
	s_and_b64 s[8:9], s[8:9], exec
	v_mov_b32_e32 v6, 0
	s_or_b64 s[4:5], s[4:5], s[8:9]
	s_or_b64 exec, exec, s[6:7]
	s_and_saveexec_b64 s[6:7], s[4:5]
	s_cbranch_execnz .LBB4_369
	s_branch .LBB4_370
.LBB4_1393:                             ;   in Loop: Header=BB4_62 Depth=1
	v_cmp_eq_u16_e32 vcc, s25, v8
	s_mov_b64 s[4:5], -1
                                        ; implicit-def: $sgpr10
	s_and_saveexec_b64 s[8:9], vcc
; %bb.1394:                             ;   in Loop: Header=BB4_62 Depth=1
	s_mov_b32 s10, 0x7f800001
	s_xor_b64 s[4:5], exec, -1
; %bb.1395:                             ;   in Loop: Header=BB4_62 Depth=1
	s_or_b64 exec, exec, s[8:9]
	s_and_b64 s[4:5], s[4:5], exec
                                        ; implicit-def: $vgpr8
	s_or_saveexec_b64 s[6:7], s[6:7]
	v_mov_b32_e32 v7, s10
	s_xor_b64 exec, exec, s[6:7]
	s_cbranch_execz .LBB4_372
.LBB4_1396:                             ;   in Loop: Header=BB4_62 Depth=1
	v_cmp_ne_u16_e32 vcc, 0, v8
	s_andn2_b64 s[4:5], s[4:5], exec
	s_and_b64 s[8:9], vcc, exec
	v_mov_b32_e32 v7, 0
	s_or_b64 s[4:5], s[4:5], s[8:9]
	s_or_b64 exec, exec, s[6:7]
	s_and_saveexec_b64 s[6:7], s[4:5]
	s_cbranch_execnz .LBB4_373
	s_branch .LBB4_374
.LBB4_1397:                             ;   in Loop: Header=BB4_62 Depth=1
	v_cmp_eq_u16_e32 vcc, s25, v34
	s_mov_b64 s[4:5], -1
                                        ; implicit-def: $sgpr10
	s_and_saveexec_b64 s[8:9], vcc
; %bb.1398:                             ;   in Loop: Header=BB4_62 Depth=1
	s_mov_b32 s10, 0x7f800001
	s_xor_b64 s[4:5], exec, -1
; %bb.1399:                             ;   in Loop: Header=BB4_62 Depth=1
	s_or_b64 exec, exec, s[8:9]
	s_and_b64 s[4:5], s[4:5], exec
	s_or_saveexec_b64 s[6:7], s[6:7]
	v_mov_b32_e32 v80, s10
	s_xor_b64 exec, exec, s[6:7]
	s_cbranch_execz .LBB4_376
.LBB4_1400:                             ;   in Loop: Header=BB4_62 Depth=1
	v_cmp_ne_u16_e32 vcc, 0, v34
	s_andn2_b64 s[4:5], s[4:5], exec
	s_and_b64 s[8:9], vcc, exec
	v_mov_b32_e32 v80, 0
	s_or_b64 s[4:5], s[4:5], s[8:9]
	s_or_b64 exec, exec, s[6:7]
	s_and_saveexec_b64 s[6:7], s[4:5]
	s_cbranch_execnz .LBB4_377
	s_branch .LBB4_378
.LBB4_1401:                             ;   in Loop: Header=BB4_62 Depth=1
	v_cmp_eq_u16_sdwa s[12:13], v32, s25 src0_sel:BYTE_0 src1_sel:DWORD
	s_mov_b64 s[4:5], -1
                                        ; implicit-def: $sgpr10
	s_and_saveexec_b64 s[8:9], s[12:13]
; %bb.1402:                             ;   in Loop: Header=BB4_62 Depth=1
	s_mov_b32 s10, 0x7f800001
	s_xor_b64 s[4:5], exec, -1
; %bb.1403:                             ;   in Loop: Header=BB4_62 Depth=1
	s_or_b64 exec, exec, s[8:9]
	s_and_b64 s[4:5], s[4:5], exec
	s_or_saveexec_b64 s[6:7], s[6:7]
	v_mov_b32_e32 v53, s10
	s_xor_b64 exec, exec, s[6:7]
	s_cbranch_execz .LBB4_380
.LBB4_1404:                             ;   in Loop: Header=BB4_62 Depth=1
	v_cmp_ne_u16_sdwa s[8:9], v32, v62 src0_sel:BYTE_0 src1_sel:DWORD
	s_andn2_b64 s[4:5], s[4:5], exec
	s_and_b64 s[8:9], s[8:9], exec
	v_mov_b32_e32 v53, 0
	s_or_b64 s[4:5], s[4:5], s[8:9]
	s_or_b64 exec, exec, s[6:7]
	s_and_saveexec_b64 s[6:7], s[4:5]
	s_cbranch_execnz .LBB4_381
	s_branch .LBB4_382
.LBB4_1405:                             ;   in Loop: Header=BB4_62 Depth=1
	v_cmp_eq_u16_sdwa s[12:13], v32, s25 src0_sel:BYTE_1 src1_sel:DWORD
	s_mov_b64 s[4:5], -1
                                        ; implicit-def: $sgpr10
	s_and_saveexec_b64 s[8:9], s[12:13]
; %bb.1406:                             ;   in Loop: Header=BB4_62 Depth=1
	s_mov_b32 s10, 0x7f800001
	s_xor_b64 s[4:5], exec, -1
; %bb.1407:                             ;   in Loop: Header=BB4_62 Depth=1
	s_or_b64 exec, exec, s[8:9]
	s_and_b64 s[4:5], s[4:5], exec
	s_or_saveexec_b64 s[6:7], s[6:7]
	v_mov_b32_e32 v65, s10
	s_xor_b64 exec, exec, s[6:7]
	s_cbranch_execz .LBB4_384
.LBB4_1408:                             ;   in Loop: Header=BB4_62 Depth=1
	v_cmp_ne_u16_sdwa s[8:9], v32, v62 src0_sel:BYTE_1 src1_sel:DWORD
	s_andn2_b64 s[4:5], s[4:5], exec
	s_and_b64 s[8:9], s[8:9], exec
	v_mov_b32_e32 v65, 0
	s_or_b64 s[4:5], s[4:5], s[8:9]
	s_or_b64 exec, exec, s[6:7]
	s_and_saveexec_b64 s[6:7], s[4:5]
	s_cbranch_execnz .LBB4_385
	s_branch .LBB4_386
.LBB4_1409:                             ;   in Loop: Header=BB4_62 Depth=1
	v_cmp_eq_u16_e32 vcc, s25, v4
	s_mov_b64 s[4:5], -1
                                        ; implicit-def: $sgpr10
	s_and_saveexec_b64 s[8:9], vcc
; %bb.1410:                             ;   in Loop: Header=BB4_62 Depth=1
	s_mov_b32 s10, 0x7f800001
	s_xor_b64 s[4:5], exec, -1
; %bb.1411:                             ;   in Loop: Header=BB4_62 Depth=1
	s_or_b64 exec, exec, s[8:9]
	s_and_b64 s[4:5], s[4:5], exec
                                        ; implicit-def: $vgpr4
	s_or_saveexec_b64 s[6:7], s[6:7]
	v_mov_b32_e32 v66, s10
	s_xor_b64 exec, exec, s[6:7]
	s_cbranch_execz .LBB4_388
.LBB4_1412:                             ;   in Loop: Header=BB4_62 Depth=1
	v_cmp_ne_u16_e32 vcc, 0, v4
	s_andn2_b64 s[4:5], s[4:5], exec
	s_and_b64 s[8:9], vcc, exec
	v_mov_b32_e32 v66, 0
	s_or_b64 s[4:5], s[4:5], s[8:9]
	s_or_b64 exec, exec, s[6:7]
	s_and_saveexec_b64 s[6:7], s[4:5]
	s_cbranch_execnz .LBB4_389
	s_branch .LBB4_390
.LBB4_1413:                             ;   in Loop: Header=BB4_62 Depth=1
	v_cmp_eq_u16_e32 vcc, s25, v4
	s_mov_b64 s[4:5], -1
                                        ; implicit-def: $sgpr10
	s_and_saveexec_b64 s[8:9], vcc
; %bb.1414:                             ;   in Loop: Header=BB4_62 Depth=1
	s_mov_b32 s10, 0x7f800001
	s_xor_b64 s[4:5], exec, -1
; %bb.1415:                             ;   in Loop: Header=BB4_62 Depth=1
	s_or_b64 exec, exec, s[8:9]
	s_and_b64 s[4:5], s[4:5], exec
	s_or_saveexec_b64 s[6:7], s[6:7]
	v_mov_b32_e32 v67, s10
	s_xor_b64 exec, exec, s[6:7]
	s_cbranch_execz .LBB4_392
.LBB4_1416:                             ;   in Loop: Header=BB4_62 Depth=1
	v_cmp_ne_u16_e32 vcc, 0, v4
	s_andn2_b64 s[4:5], s[4:5], exec
	s_and_b64 s[8:9], vcc, exec
	v_mov_b32_e32 v67, 0
	s_or_b64 s[4:5], s[4:5], s[8:9]
	s_or_b64 exec, exec, s[6:7]
	s_and_saveexec_b64 s[6:7], s[4:5]
	s_cbranch_execnz .LBB4_393
	s_branch .LBB4_394
.LBB4_1417:                             ;   in Loop: Header=BB4_62 Depth=1
	v_cmp_eq_u16_sdwa s[12:13], v33, s25 src0_sel:BYTE_0 src1_sel:DWORD
	s_mov_b64 s[4:5], -1
                                        ; implicit-def: $sgpr10
	s_and_saveexec_b64 s[8:9], s[12:13]
; %bb.1418:                             ;   in Loop: Header=BB4_62 Depth=1
	s_mov_b32 s10, 0x7f800001
	s_xor_b64 s[4:5], exec, -1
; %bb.1419:                             ;   in Loop: Header=BB4_62 Depth=1
	s_or_b64 exec, exec, s[8:9]
	s_and_b64 s[4:5], s[4:5], exec
	s_or_saveexec_b64 s[6:7], s[6:7]
	v_mov_b32_e32 v32, s10
	s_xor_b64 exec, exec, s[6:7]
	s_cbranch_execz .LBB4_396
.LBB4_1420:                             ;   in Loop: Header=BB4_62 Depth=1
	v_cmp_ne_u16_sdwa s[8:9], v33, v62 src0_sel:BYTE_0 src1_sel:DWORD
	s_andn2_b64 s[4:5], s[4:5], exec
	s_and_b64 s[8:9], s[8:9], exec
	v_mov_b32_e32 v32, 0
	s_or_b64 s[4:5], s[4:5], s[8:9]
	s_or_b64 exec, exec, s[6:7]
	s_and_saveexec_b64 s[6:7], s[4:5]
	s_cbranch_execnz .LBB4_397
	s_branch .LBB4_398
.LBB4_1421:                             ;   in Loop: Header=BB4_62 Depth=1
	v_cmp_eq_u16_sdwa s[12:13], v33, s25 src0_sel:BYTE_1 src1_sel:DWORD
	s_mov_b64 s[4:5], -1
                                        ; implicit-def: $sgpr10
	s_and_saveexec_b64 s[8:9], s[12:13]
; %bb.1422:                             ;   in Loop: Header=BB4_62 Depth=1
	s_mov_b32 s10, 0x7f800001
	s_xor_b64 s[4:5], exec, -1
; %bb.1423:                             ;   in Loop: Header=BB4_62 Depth=1
	s_or_b64 exec, exec, s[8:9]
	s_and_b64 s[4:5], s[4:5], exec
	s_or_saveexec_b64 s[6:7], s[6:7]
	v_mov_b32_e32 v68, s10
	s_xor_b64 exec, exec, s[6:7]
	s_cbranch_execz .LBB4_400
.LBB4_1424:                             ;   in Loop: Header=BB4_62 Depth=1
	v_cmp_ne_u16_sdwa s[8:9], v33, v62 src0_sel:BYTE_1 src1_sel:DWORD
	s_andn2_b64 s[4:5], s[4:5], exec
	s_and_b64 s[8:9], s[8:9], exec
	v_mov_b32_e32 v68, 0
	s_or_b64 s[4:5], s[4:5], s[8:9]
	s_or_b64 exec, exec, s[6:7]
	s_and_saveexec_b64 s[6:7], s[4:5]
	s_cbranch_execnz .LBB4_401
	s_branch .LBB4_402
.LBB4_1425:                             ;   in Loop: Header=BB4_62 Depth=1
	v_cmp_eq_u16_e32 vcc, s25, v4
	s_mov_b64 s[4:5], -1
                                        ; implicit-def: $sgpr10
	s_and_saveexec_b64 s[8:9], vcc
; %bb.1426:                             ;   in Loop: Header=BB4_62 Depth=1
	s_mov_b32 s10, 0x7f800001
	s_xor_b64 s[4:5], exec, -1
; %bb.1427:                             ;   in Loop: Header=BB4_62 Depth=1
	s_or_b64 exec, exec, s[8:9]
	s_and_b64 s[4:5], s[4:5], exec
                                        ; implicit-def: $vgpr4
	s_or_saveexec_b64 s[6:7], s[6:7]
	v_mov_b32_e32 v69, s10
	s_xor_b64 exec, exec, s[6:7]
	s_cbranch_execz .LBB4_404
.LBB4_1428:                             ;   in Loop: Header=BB4_62 Depth=1
	v_cmp_ne_u16_e32 vcc, 0, v4
	s_andn2_b64 s[4:5], s[4:5], exec
	s_and_b64 s[8:9], vcc, exec
	v_mov_b32_e32 v69, 0
	s_or_b64 s[4:5], s[4:5], s[8:9]
	s_or_b64 exec, exec, s[6:7]
	s_and_saveexec_b64 s[6:7], s[4:5]
	s_cbranch_execnz .LBB4_405
	s_branch .LBB4_406
.LBB4_1429:                             ;   in Loop: Header=BB4_62 Depth=1
	v_cmp_eq_u16_e32 vcc, s25, v4
	s_mov_b64 s[4:5], -1
                                        ; implicit-def: $sgpr10
	s_and_saveexec_b64 s[8:9], vcc
; %bb.1430:                             ;   in Loop: Header=BB4_62 Depth=1
	s_mov_b32 s10, 0x7f800001
	s_xor_b64 s[4:5], exec, -1
; %bb.1431:                             ;   in Loop: Header=BB4_62 Depth=1
	s_or_b64 exec, exec, s[8:9]
	s_and_b64 s[4:5], s[4:5], exec
	s_or_saveexec_b64 s[6:7], s[6:7]
	v_mov_b32_e32 v70, s10
	s_xor_b64 exec, exec, s[6:7]
	s_cbranch_execz .LBB4_408
.LBB4_1432:                             ;   in Loop: Header=BB4_62 Depth=1
	v_cmp_ne_u16_e32 vcc, 0, v4
	s_andn2_b64 s[4:5], s[4:5], exec
	s_and_b64 s[8:9], vcc, exec
	v_mov_b32_e32 v70, 0
	s_or_b64 s[4:5], s[4:5], s[8:9]
	s_or_b64 exec, exec, s[6:7]
	s_and_saveexec_b64 s[6:7], s[4:5]
	s_cbranch_execnz .LBB4_409
	s_branch .LBB4_410
.LBB4_1433:                             ;   in Loop: Header=BB4_62 Depth=1
	v_cmp_eq_u16_sdwa s[12:13], v34, s25 src0_sel:BYTE_0 src1_sel:DWORD
	s_mov_b64 s[4:5], -1
                                        ; implicit-def: $sgpr10
	s_and_saveexec_b64 s[8:9], s[12:13]
; %bb.1434:                             ;   in Loop: Header=BB4_62 Depth=1
	s_mov_b32 s10, 0x7f800001
	s_xor_b64 s[4:5], exec, -1
; %bb.1435:                             ;   in Loop: Header=BB4_62 Depth=1
	s_or_b64 exec, exec, s[8:9]
	s_and_b64 s[4:5], s[4:5], exec
	s_or_saveexec_b64 s[6:7], s[6:7]
	v_mov_b32_e32 v33, s10
	s_xor_b64 exec, exec, s[6:7]
	s_cbranch_execz .LBB4_412
.LBB4_1436:                             ;   in Loop: Header=BB4_62 Depth=1
	v_cmp_ne_u16_sdwa s[8:9], v34, v62 src0_sel:BYTE_0 src1_sel:DWORD
	s_andn2_b64 s[4:5], s[4:5], exec
	s_and_b64 s[8:9], s[8:9], exec
	v_mov_b32_e32 v33, 0
	s_or_b64 s[4:5], s[4:5], s[8:9]
	s_or_b64 exec, exec, s[6:7]
	s_and_saveexec_b64 s[6:7], s[4:5]
	s_cbranch_execnz .LBB4_413
	s_branch .LBB4_414
.LBB4_1437:                             ;   in Loop: Header=BB4_62 Depth=1
	v_cmp_eq_u16_sdwa s[12:13], v34, s25 src0_sel:BYTE_1 src1_sel:DWORD
	s_mov_b64 s[4:5], -1
                                        ; implicit-def: $sgpr10
	s_and_saveexec_b64 s[8:9], s[12:13]
; %bb.1438:                             ;   in Loop: Header=BB4_62 Depth=1
	s_mov_b32 s10, 0x7f800001
	s_xor_b64 s[4:5], exec, -1
; %bb.1439:                             ;   in Loop: Header=BB4_62 Depth=1
	s_or_b64 exec, exec, s[8:9]
	s_and_b64 s[4:5], s[4:5], exec
	s_or_saveexec_b64 s[6:7], s[6:7]
	v_mov_b32_e32 v71, s10
	s_xor_b64 exec, exec, s[6:7]
	s_cbranch_execz .LBB4_416
.LBB4_1440:                             ;   in Loop: Header=BB4_62 Depth=1
	v_cmp_ne_u16_sdwa s[8:9], v34, v62 src0_sel:BYTE_1 src1_sel:DWORD
	s_andn2_b64 s[4:5], s[4:5], exec
	s_and_b64 s[8:9], s[8:9], exec
	v_mov_b32_e32 v71, 0
	s_or_b64 s[4:5], s[4:5], s[8:9]
	s_or_b64 exec, exec, s[6:7]
	s_and_saveexec_b64 s[6:7], s[4:5]
	s_cbranch_execnz .LBB4_417
	s_branch .LBB4_418
.LBB4_1441:                             ;   in Loop: Header=BB4_62 Depth=1
	v_cmp_eq_u16_e32 vcc, s25, v4
	s_mov_b64 s[4:5], -1
                                        ; implicit-def: $sgpr10
	s_and_saveexec_b64 s[8:9], vcc
; %bb.1442:                             ;   in Loop: Header=BB4_62 Depth=1
	s_mov_b32 s10, 0x7f800001
	s_xor_b64 s[4:5], exec, -1
; %bb.1443:                             ;   in Loop: Header=BB4_62 Depth=1
	s_or_b64 exec, exec, s[8:9]
	s_and_b64 s[4:5], s[4:5], exec
                                        ; implicit-def: $vgpr4
	s_or_saveexec_b64 s[6:7], s[6:7]
	v_mov_b32_e32 v80, s10
	s_xor_b64 exec, exec, s[6:7]
	s_cbranch_execz .LBB4_420
.LBB4_1444:                             ;   in Loop: Header=BB4_62 Depth=1
	v_cmp_ne_u16_e32 vcc, 0, v4
	s_andn2_b64 s[4:5], s[4:5], exec
	s_and_b64 s[8:9], vcc, exec
	v_mov_b32_e32 v80, 0
	s_or_b64 s[4:5], s[4:5], s[8:9]
	s_or_b64 exec, exec, s[6:7]
	s_and_saveexec_b64 s[6:7], s[4:5]
	s_cbranch_execnz .LBB4_421
	s_branch .LBB4_422
.LBB4_1445:                             ;   in Loop: Header=BB4_62 Depth=1
	v_cmp_eq_u16_e32 vcc, s25, v5
	s_mov_b64 s[4:5], -1
                                        ; implicit-def: $sgpr10
	s_and_saveexec_b64 s[8:9], vcc
; %bb.1446:                             ;   in Loop: Header=BB4_62 Depth=1
	s_mov_b32 s10, 0x7f800001
	s_xor_b64 s[4:5], exec, -1
; %bb.1447:                             ;   in Loop: Header=BB4_62 Depth=1
	s_or_b64 exec, exec, s[8:9]
	s_and_b64 s[4:5], s[4:5], exec
	s_or_saveexec_b64 s[6:7], s[6:7]
	v_mov_b32_e32 v4, s10
	s_xor_b64 exec, exec, s[6:7]
	s_cbranch_execz .LBB4_424
.LBB4_1448:                             ;   in Loop: Header=BB4_62 Depth=1
	v_cmp_ne_u16_e32 vcc, 0, v5
	s_andn2_b64 s[4:5], s[4:5], exec
	s_and_b64 s[8:9], vcc, exec
	v_mov_b32_e32 v4, 0
	s_or_b64 s[4:5], s[4:5], s[8:9]
	s_or_b64 exec, exec, s[6:7]
	s_and_saveexec_b64 s[6:7], s[4:5]
	s_cbranch_execnz .LBB4_425
	s_branch .LBB4_426
.LBB4_1449:                             ;   in Loop: Header=BB4_62 Depth=1
	v_cmp_eq_u16_sdwa s[12:13], v35, s25 src0_sel:BYTE_0 src1_sel:DWORD
	s_mov_b64 s[4:5], -1
                                        ; implicit-def: $sgpr10
	s_and_saveexec_b64 s[8:9], s[12:13]
; %bb.1450:                             ;   in Loop: Header=BB4_62 Depth=1
	s_mov_b32 s10, 0x7f800001
	s_xor_b64 s[4:5], exec, -1
; %bb.1451:                             ;   in Loop: Header=BB4_62 Depth=1
	s_or_b64 exec, exec, s[8:9]
	s_and_b64 s[4:5], s[4:5], exec
	s_or_saveexec_b64 s[6:7], s[6:7]
	v_mov_b32_e32 v5, s10
	s_xor_b64 exec, exec, s[6:7]
	s_cbranch_execz .LBB4_428
.LBB4_1452:                             ;   in Loop: Header=BB4_62 Depth=1
	v_cmp_ne_u16_sdwa s[8:9], v35, v62 src0_sel:BYTE_0 src1_sel:DWORD
	s_andn2_b64 s[4:5], s[4:5], exec
	s_and_b64 s[8:9], s[8:9], exec
	v_mov_b32_e32 v5, 0
	s_or_b64 s[4:5], s[4:5], s[8:9]
	s_or_b64 exec, exec, s[6:7]
	s_and_saveexec_b64 s[6:7], s[4:5]
	s_cbranch_execnz .LBB4_429
	s_branch .LBB4_430
.LBB4_1453:                             ;   in Loop: Header=BB4_62 Depth=1
	v_cmp_eq_u16_sdwa s[12:13], v35, s25 src0_sel:BYTE_1 src1_sel:DWORD
	s_mov_b64 s[4:5], -1
                                        ; implicit-def: $sgpr10
	s_and_saveexec_b64 s[8:9], s[12:13]
; %bb.1454:                             ;   in Loop: Header=BB4_62 Depth=1
	s_mov_b32 s10, 0x7f800001
	s_xor_b64 s[4:5], exec, -1
; %bb.1455:                             ;   in Loop: Header=BB4_62 Depth=1
	s_or_b64 exec, exec, s[8:9]
	s_and_b64 s[4:5], s[4:5], exec
	s_or_saveexec_b64 s[6:7], s[6:7]
	v_mov_b32_e32 v6, s10
	s_xor_b64 exec, exec, s[6:7]
	s_cbranch_execz .LBB4_432
.LBB4_1456:                             ;   in Loop: Header=BB4_62 Depth=1
	v_cmp_ne_u16_sdwa s[8:9], v35, v62 src0_sel:BYTE_1 src1_sel:DWORD
	s_andn2_b64 s[4:5], s[4:5], exec
	s_and_b64 s[8:9], s[8:9], exec
	v_mov_b32_e32 v6, 0
	s_or_b64 s[4:5], s[4:5], s[8:9]
	s_or_b64 exec, exec, s[6:7]
	s_and_saveexec_b64 s[6:7], s[4:5]
	s_cbranch_execnz .LBB4_433
	s_branch .LBB4_434
.LBB4_1457:                             ;   in Loop: Header=BB4_62 Depth=1
	v_cmp_eq_u16_e32 vcc, s25, v8
	s_mov_b64 s[4:5], -1
                                        ; implicit-def: $sgpr10
	s_and_saveexec_b64 s[8:9], vcc
; %bb.1458:                             ;   in Loop: Header=BB4_62 Depth=1
	s_mov_b32 s10, 0x7f800001
	s_xor_b64 s[4:5], exec, -1
; %bb.1459:                             ;   in Loop: Header=BB4_62 Depth=1
	s_or_b64 exec, exec, s[8:9]
	s_and_b64 s[4:5], s[4:5], exec
                                        ; implicit-def: $vgpr8
	s_or_saveexec_b64 s[6:7], s[6:7]
	v_mov_b32_e32 v7, s10
	s_xor_b64 exec, exec, s[6:7]
	s_cbranch_execz .LBB4_436
.LBB4_1460:                             ;   in Loop: Header=BB4_62 Depth=1
	v_cmp_ne_u16_e32 vcc, 0, v8
	s_andn2_b64 s[4:5], s[4:5], exec
	s_and_b64 s[8:9], vcc, exec
	v_mov_b32_e32 v7, 0
	s_or_b64 s[4:5], s[4:5], s[8:9]
	s_or_b64 exec, exec, s[6:7]
	s_and_saveexec_b64 s[6:7], s[4:5]
	s_cbranch_execnz .LBB4_437
	s_branch .LBB4_438
.LBB4_1461:                             ;   in Loop: Header=BB4_62 Depth=1
	v_cmp_eq_u16_e32 vcc, s25, v34
	s_mov_b64 s[4:5], -1
                                        ; implicit-def: $sgpr10
	s_and_saveexec_b64 s[8:9], vcc
; %bb.1462:                             ;   in Loop: Header=BB4_62 Depth=1
	s_mov_b32 s10, 0x7f800001
	s_xor_b64 s[4:5], exec, -1
; %bb.1463:                             ;   in Loop: Header=BB4_62 Depth=1
	s_or_b64 exec, exec, s[8:9]
	s_and_b64 s[4:5], s[4:5], exec
	s_or_saveexec_b64 s[6:7], s[6:7]
	v_mov_b32_e32 v81, s10
	s_xor_b64 exec, exec, s[6:7]
	s_cbranch_execz .LBB4_440
.LBB4_1464:                             ;   in Loop: Header=BB4_62 Depth=1
	v_cmp_ne_u16_e32 vcc, 0, v34
	s_andn2_b64 s[4:5], s[4:5], exec
	s_and_b64 s[8:9], vcc, exec
	v_mov_b32_e32 v81, 0
	s_or_b64 s[4:5], s[4:5], s[8:9]
	s_or_b64 exec, exec, s[6:7]
	s_and_saveexec_b64 s[6:7], s[4:5]
	s_cbranch_execnz .LBB4_441
	s_branch .LBB4_442
.LBB4_1465:                             ;   in Loop: Header=BB4_62 Depth=1
	v_cmp_eq_u16_sdwa s[12:13], v32, s25 src0_sel:BYTE_0 src1_sel:DWORD
	s_mov_b64 s[4:5], -1
                                        ; implicit-def: $sgpr10
	s_and_saveexec_b64 s[8:9], s[12:13]
; %bb.1466:                             ;   in Loop: Header=BB4_62 Depth=1
	s_mov_b32 s10, 0x7f800001
	s_xor_b64 s[4:5], exec, -1
; %bb.1467:                             ;   in Loop: Header=BB4_62 Depth=1
	s_or_b64 exec, exec, s[8:9]
	s_and_b64 s[4:5], s[4:5], exec
	s_or_saveexec_b64 s[6:7], s[6:7]
	v_mov_b32_e32 v0, s10
	s_xor_b64 exec, exec, s[6:7]
	s_cbranch_execz .LBB4_444
.LBB4_1468:                             ;   in Loop: Header=BB4_62 Depth=1
	v_cmp_ne_u16_sdwa s[8:9], v32, v62 src0_sel:BYTE_0 src1_sel:DWORD
	s_andn2_b64 s[4:5], s[4:5], exec
	s_and_b64 s[8:9], s[8:9], exec
	v_mov_b32_e32 v0, 0
	s_or_b64 s[4:5], s[4:5], s[8:9]
	s_or_b64 exec, exec, s[6:7]
	s_and_saveexec_b64 s[6:7], s[4:5]
	s_cbranch_execnz .LBB4_445
	s_branch .LBB4_446
.LBB4_1469:                             ;   in Loop: Header=BB4_62 Depth=1
	v_cmp_eq_u16_sdwa s[12:13], v32, s25 src0_sel:BYTE_1 src1_sel:DWORD
	s_mov_b64 s[4:5], -1
                                        ; implicit-def: $sgpr10
	s_and_saveexec_b64 s[8:9], s[12:13]
; %bb.1470:                             ;   in Loop: Header=BB4_62 Depth=1
	s_mov_b32 s10, 0x7f800001
	s_xor_b64 s[4:5], exec, -1
; %bb.1471:                             ;   in Loop: Header=BB4_62 Depth=1
	s_or_b64 exec, exec, s[8:9]
	s_and_b64 s[4:5], s[4:5], exec
	s_or_saveexec_b64 s[6:7], s[6:7]
	v_mov_b32_e32 v52, s10
	s_xor_b64 exec, exec, s[6:7]
	s_cbranch_execz .LBB4_448
.LBB4_1472:                             ;   in Loop: Header=BB4_62 Depth=1
	v_cmp_ne_u16_sdwa s[8:9], v32, v62 src0_sel:BYTE_1 src1_sel:DWORD
	s_andn2_b64 s[4:5], s[4:5], exec
	s_and_b64 s[8:9], s[8:9], exec
	v_mov_b32_e32 v52, 0
	s_or_b64 s[4:5], s[4:5], s[8:9]
	s_or_b64 exec, exec, s[6:7]
	s_and_saveexec_b64 s[6:7], s[4:5]
	s_cbranch_execnz .LBB4_449
	s_branch .LBB4_450
.LBB4_1473:                             ;   in Loop: Header=BB4_62 Depth=1
	v_cmp_eq_u16_e32 vcc, s25, v4
	s_mov_b64 s[4:5], -1
                                        ; implicit-def: $sgpr10
	s_and_saveexec_b64 s[8:9], vcc
; %bb.1474:                             ;   in Loop: Header=BB4_62 Depth=1
	s_mov_b32 s10, 0x7f800001
	s_xor_b64 s[4:5], exec, -1
; %bb.1475:                             ;   in Loop: Header=BB4_62 Depth=1
	s_or_b64 exec, exec, s[8:9]
	s_and_b64 s[4:5], s[4:5], exec
                                        ; implicit-def: $vgpr4
	s_or_saveexec_b64 s[6:7], s[6:7]
	v_mov_b32_e32 v53, s10
	s_xor_b64 exec, exec, s[6:7]
	s_cbranch_execz .LBB4_452
.LBB4_1476:                             ;   in Loop: Header=BB4_62 Depth=1
	v_cmp_ne_u16_e32 vcc, 0, v4
	s_andn2_b64 s[4:5], s[4:5], exec
	s_and_b64 s[8:9], vcc, exec
	v_mov_b32_e32 v53, 0
	s_or_b64 s[4:5], s[4:5], s[8:9]
	s_or_b64 exec, exec, s[6:7]
	s_and_saveexec_b64 s[6:7], s[4:5]
	s_cbranch_execnz .LBB4_453
	s_branch .LBB4_454
.LBB4_1477:                             ;   in Loop: Header=BB4_62 Depth=1
	v_cmp_eq_u16_e32 vcc, s25, v4
	s_mov_b64 s[4:5], -1
                                        ; implicit-def: $sgpr10
	s_and_saveexec_b64 s[8:9], vcc
; %bb.1478:                             ;   in Loop: Header=BB4_62 Depth=1
	s_mov_b32 s10, 0x7f800001
	s_xor_b64 s[4:5], exec, -1
; %bb.1479:                             ;   in Loop: Header=BB4_62 Depth=1
	s_or_b64 exec, exec, s[8:9]
	s_and_b64 s[4:5], s[4:5], exec
	s_or_saveexec_b64 s[6:7], s[6:7]
	v_mov_b32_e32 v54, s10
	s_xor_b64 exec, exec, s[6:7]
	s_cbranch_execz .LBB4_456
.LBB4_1480:                             ;   in Loop: Header=BB4_62 Depth=1
	v_cmp_ne_u16_e32 vcc, 0, v4
	s_andn2_b64 s[4:5], s[4:5], exec
	s_and_b64 s[8:9], vcc, exec
	v_mov_b32_e32 v54, 0
	s_or_b64 s[4:5], s[4:5], s[8:9]
	s_or_b64 exec, exec, s[6:7]
	s_and_saveexec_b64 s[6:7], s[4:5]
	s_cbranch_execnz .LBB4_457
	s_branch .LBB4_458
.LBB4_1481:                             ;   in Loop: Header=BB4_62 Depth=1
	v_cmp_eq_u16_sdwa s[12:13], v33, s25 src0_sel:BYTE_0 src1_sel:DWORD
	s_mov_b64 s[4:5], -1
                                        ; implicit-def: $sgpr10
	s_and_saveexec_b64 s[8:9], s[12:13]
; %bb.1482:                             ;   in Loop: Header=BB4_62 Depth=1
	s_mov_b32 s10, 0x7f800001
	s_xor_b64 s[4:5], exec, -1
; %bb.1483:                             ;   in Loop: Header=BB4_62 Depth=1
	s_or_b64 exec, exec, s[8:9]
	s_and_b64 s[4:5], s[4:5], exec
	s_or_saveexec_b64 s[6:7], s[6:7]
	v_mov_b32_e32 v32, s10
	s_xor_b64 exec, exec, s[6:7]
	s_cbranch_execz .LBB4_460
.LBB4_1484:                             ;   in Loop: Header=BB4_62 Depth=1
	v_cmp_ne_u16_sdwa s[8:9], v33, v62 src0_sel:BYTE_0 src1_sel:DWORD
	s_andn2_b64 s[4:5], s[4:5], exec
	s_and_b64 s[8:9], s[8:9], exec
	v_mov_b32_e32 v32, 0
	s_or_b64 s[4:5], s[4:5], s[8:9]
	s_or_b64 exec, exec, s[6:7]
	s_and_saveexec_b64 s[6:7], s[4:5]
	s_cbranch_execnz .LBB4_461
	s_branch .LBB4_462
.LBB4_1485:                             ;   in Loop: Header=BB4_62 Depth=1
	v_cmp_eq_u16_sdwa s[12:13], v33, s25 src0_sel:BYTE_1 src1_sel:DWORD
	s_mov_b64 s[4:5], -1
                                        ; implicit-def: $sgpr10
	s_and_saveexec_b64 s[8:9], s[12:13]
; %bb.1486:                             ;   in Loop: Header=BB4_62 Depth=1
	s_mov_b32 s10, 0x7f800001
	s_xor_b64 s[4:5], exec, -1
; %bb.1487:                             ;   in Loop: Header=BB4_62 Depth=1
	s_or_b64 exec, exec, s[8:9]
	s_and_b64 s[4:5], s[4:5], exec
	s_or_saveexec_b64 s[6:7], s[6:7]
	v_mov_b32_e32 v55, s10
	s_xor_b64 exec, exec, s[6:7]
	s_cbranch_execz .LBB4_464
.LBB4_1488:                             ;   in Loop: Header=BB4_62 Depth=1
	v_cmp_ne_u16_sdwa s[8:9], v33, v62 src0_sel:BYTE_1 src1_sel:DWORD
	s_andn2_b64 s[4:5], s[4:5], exec
	s_and_b64 s[8:9], s[8:9], exec
	v_mov_b32_e32 v55, 0
	s_or_b64 s[4:5], s[4:5], s[8:9]
	s_or_b64 exec, exec, s[6:7]
	s_and_saveexec_b64 s[6:7], s[4:5]
	s_cbranch_execnz .LBB4_465
	s_branch .LBB4_466
.LBB4_1489:                             ;   in Loop: Header=BB4_62 Depth=1
	v_cmp_eq_u16_e32 vcc, s25, v4
	s_mov_b64 s[4:5], -1
                                        ; implicit-def: $sgpr10
	s_and_saveexec_b64 s[8:9], vcc
; %bb.1490:                             ;   in Loop: Header=BB4_62 Depth=1
	s_mov_b32 s10, 0x7f800001
	s_xor_b64 s[4:5], exec, -1
; %bb.1491:                             ;   in Loop: Header=BB4_62 Depth=1
	s_or_b64 exec, exec, s[8:9]
	s_and_b64 s[4:5], s[4:5], exec
                                        ; implicit-def: $vgpr4
	s_or_saveexec_b64 s[6:7], s[6:7]
	v_mov_b32_e32 v65, s10
	s_xor_b64 exec, exec, s[6:7]
	s_cbranch_execz .LBB4_468
.LBB4_1492:                             ;   in Loop: Header=BB4_62 Depth=1
	v_cmp_ne_u16_e32 vcc, 0, v4
	s_andn2_b64 s[4:5], s[4:5], exec
	s_and_b64 s[8:9], vcc, exec
	v_mov_b32_e32 v65, 0
	s_or_b64 s[4:5], s[4:5], s[8:9]
	s_or_b64 exec, exec, s[6:7]
	s_and_saveexec_b64 s[6:7], s[4:5]
	s_cbranch_execnz .LBB4_469
	s_branch .LBB4_470
.LBB4_1493:                             ;   in Loop: Header=BB4_62 Depth=1
	v_cmp_eq_u16_e32 vcc, s25, v4
	s_mov_b64 s[4:5], -1
                                        ; implicit-def: $sgpr10
	s_and_saveexec_b64 s[8:9], vcc
; %bb.1494:                             ;   in Loop: Header=BB4_62 Depth=1
	s_mov_b32 s10, 0x7f800001
	s_xor_b64 s[4:5], exec, -1
; %bb.1495:                             ;   in Loop: Header=BB4_62 Depth=1
	s_or_b64 exec, exec, s[8:9]
	s_and_b64 s[4:5], s[4:5], exec
	s_or_saveexec_b64 s[6:7], s[6:7]
	v_mov_b32_e32 v66, s10
	s_xor_b64 exec, exec, s[6:7]
	s_cbranch_execz .LBB4_472
.LBB4_1496:                             ;   in Loop: Header=BB4_62 Depth=1
	v_cmp_ne_u16_e32 vcc, 0, v4
	s_andn2_b64 s[4:5], s[4:5], exec
	s_and_b64 s[8:9], vcc, exec
	v_mov_b32_e32 v66, 0
	s_or_b64 s[4:5], s[4:5], s[8:9]
	s_or_b64 exec, exec, s[6:7]
	s_and_saveexec_b64 s[6:7], s[4:5]
	s_cbranch_execnz .LBB4_473
	s_branch .LBB4_474
.LBB4_1497:                             ;   in Loop: Header=BB4_62 Depth=1
	v_cmp_eq_u16_sdwa s[12:13], v34, s25 src0_sel:BYTE_0 src1_sel:DWORD
	s_mov_b64 s[4:5], -1
                                        ; implicit-def: $sgpr10
	s_and_saveexec_b64 s[8:9], s[12:13]
; %bb.1498:                             ;   in Loop: Header=BB4_62 Depth=1
	s_mov_b32 s10, 0x7f800001
	s_xor_b64 s[4:5], exec, -1
; %bb.1499:                             ;   in Loop: Header=BB4_62 Depth=1
	s_or_b64 exec, exec, s[8:9]
	s_and_b64 s[4:5], s[4:5], exec
	s_or_saveexec_b64 s[6:7], s[6:7]
	v_mov_b32_e32 v33, s10
	s_xor_b64 exec, exec, s[6:7]
	s_cbranch_execz .LBB4_476
.LBB4_1500:                             ;   in Loop: Header=BB4_62 Depth=1
	v_cmp_ne_u16_sdwa s[8:9], v34, v62 src0_sel:BYTE_0 src1_sel:DWORD
	s_andn2_b64 s[4:5], s[4:5], exec
	s_and_b64 s[8:9], s[8:9], exec
	v_mov_b32_e32 v33, 0
	s_or_b64 s[4:5], s[4:5], s[8:9]
	s_or_b64 exec, exec, s[6:7]
	s_and_saveexec_b64 s[6:7], s[4:5]
	s_cbranch_execnz .LBB4_477
	s_branch .LBB4_478
.LBB4_1501:                             ;   in Loop: Header=BB4_62 Depth=1
	v_cmp_eq_u16_sdwa s[12:13], v34, s25 src0_sel:BYTE_1 src1_sel:DWORD
	s_mov_b64 s[4:5], -1
                                        ; implicit-def: $sgpr10
	s_and_saveexec_b64 s[8:9], s[12:13]
; %bb.1502:                             ;   in Loop: Header=BB4_62 Depth=1
	s_mov_b32 s10, 0x7f800001
	s_xor_b64 s[4:5], exec, -1
; %bb.1503:                             ;   in Loop: Header=BB4_62 Depth=1
	s_or_b64 exec, exec, s[8:9]
	s_and_b64 s[4:5], s[4:5], exec
	s_or_saveexec_b64 s[6:7], s[6:7]
	v_mov_b32_e32 v67, s10
	s_xor_b64 exec, exec, s[6:7]
	s_cbranch_execz .LBB4_480
.LBB4_1504:                             ;   in Loop: Header=BB4_62 Depth=1
	v_cmp_ne_u16_sdwa s[8:9], v34, v62 src0_sel:BYTE_1 src1_sel:DWORD
	s_andn2_b64 s[4:5], s[4:5], exec
	s_and_b64 s[8:9], s[8:9], exec
	v_mov_b32_e32 v67, 0
	s_or_b64 s[4:5], s[4:5], s[8:9]
	s_or_b64 exec, exec, s[6:7]
	s_and_saveexec_b64 s[6:7], s[4:5]
	s_cbranch_execnz .LBB4_481
	s_branch .LBB4_482
.LBB4_1505:                             ;   in Loop: Header=BB4_62 Depth=1
	v_cmp_eq_u16_e32 vcc, s25, v4
	s_mov_b64 s[4:5], -1
                                        ; implicit-def: $sgpr10
	s_and_saveexec_b64 s[8:9], vcc
; %bb.1506:                             ;   in Loop: Header=BB4_62 Depth=1
	s_mov_b32 s10, 0x7f800001
	s_xor_b64 s[4:5], exec, -1
; %bb.1507:                             ;   in Loop: Header=BB4_62 Depth=1
	s_or_b64 exec, exec, s[8:9]
	s_and_b64 s[4:5], s[4:5], exec
                                        ; implicit-def: $vgpr4
	s_or_saveexec_b64 s[6:7], s[6:7]
	v_mov_b32_e32 v68, s10
	s_xor_b64 exec, exec, s[6:7]
	s_cbranch_execz .LBB4_484
.LBB4_1508:                             ;   in Loop: Header=BB4_62 Depth=1
	v_cmp_ne_u16_e32 vcc, 0, v4
	s_andn2_b64 s[4:5], s[4:5], exec
	s_and_b64 s[8:9], vcc, exec
	v_mov_b32_e32 v68, 0
	s_or_b64 s[4:5], s[4:5], s[8:9]
	s_or_b64 exec, exec, s[6:7]
	s_and_saveexec_b64 s[6:7], s[4:5]
	s_cbranch_execnz .LBB4_485
	s_branch .LBB4_486
.LBB4_1509:                             ;   in Loop: Header=BB4_62 Depth=1
	v_cmp_eq_u16_e32 vcc, s25, v5
	s_mov_b64 s[4:5], -1
                                        ; implicit-def: $sgpr10
	s_and_saveexec_b64 s[8:9], vcc
; %bb.1510:                             ;   in Loop: Header=BB4_62 Depth=1
	s_mov_b32 s10, 0x7f800001
	s_xor_b64 s[4:5], exec, -1
; %bb.1511:                             ;   in Loop: Header=BB4_62 Depth=1
	s_or_b64 exec, exec, s[8:9]
	s_and_b64 s[4:5], s[4:5], exec
	s_or_saveexec_b64 s[6:7], s[6:7]
	v_mov_b32_e32 v4, s10
	s_xor_b64 exec, exec, s[6:7]
	s_cbranch_execz .LBB4_488
.LBB4_1512:                             ;   in Loop: Header=BB4_62 Depth=1
	v_cmp_ne_u16_e32 vcc, 0, v5
	s_andn2_b64 s[4:5], s[4:5], exec
	s_and_b64 s[8:9], vcc, exec
	v_mov_b32_e32 v4, 0
	s_or_b64 s[4:5], s[4:5], s[8:9]
	s_or_b64 exec, exec, s[6:7]
	s_and_saveexec_b64 s[6:7], s[4:5]
	s_cbranch_execnz .LBB4_489
	s_branch .LBB4_490
.LBB4_1513:                             ;   in Loop: Header=BB4_62 Depth=1
	v_cmp_eq_u16_sdwa s[12:13], v35, s25 src0_sel:BYTE_0 src1_sel:DWORD
	s_mov_b64 s[4:5], -1
                                        ; implicit-def: $sgpr10
	s_and_saveexec_b64 s[8:9], s[12:13]
; %bb.1514:                             ;   in Loop: Header=BB4_62 Depth=1
	s_mov_b32 s10, 0x7f800001
	s_xor_b64 s[4:5], exec, -1
; %bb.1515:                             ;   in Loop: Header=BB4_62 Depth=1
	s_or_b64 exec, exec, s[8:9]
	s_and_b64 s[4:5], s[4:5], exec
	s_or_saveexec_b64 s[6:7], s[6:7]
	v_mov_b32_e32 v5, s10
	s_xor_b64 exec, exec, s[6:7]
	s_cbranch_execz .LBB4_492
.LBB4_1516:                             ;   in Loop: Header=BB4_62 Depth=1
	v_cmp_ne_u16_sdwa s[8:9], v35, v62 src0_sel:BYTE_0 src1_sel:DWORD
	s_andn2_b64 s[4:5], s[4:5], exec
	s_and_b64 s[8:9], s[8:9], exec
	v_mov_b32_e32 v5, 0
	s_or_b64 s[4:5], s[4:5], s[8:9]
	s_or_b64 exec, exec, s[6:7]
	s_and_saveexec_b64 s[6:7], s[4:5]
	s_cbranch_execnz .LBB4_493
	s_branch .LBB4_494
.LBB4_1517:                             ;   in Loop: Header=BB4_62 Depth=1
	v_cmp_eq_u16_sdwa s[12:13], v35, s25 src0_sel:BYTE_1 src1_sel:DWORD
	s_mov_b64 s[4:5], -1
                                        ; implicit-def: $sgpr10
	s_and_saveexec_b64 s[8:9], s[12:13]
; %bb.1518:                             ;   in Loop: Header=BB4_62 Depth=1
	s_mov_b32 s10, 0x7f800001
	s_xor_b64 s[4:5], exec, -1
; %bb.1519:                             ;   in Loop: Header=BB4_62 Depth=1
	s_or_b64 exec, exec, s[8:9]
	s_and_b64 s[4:5], s[4:5], exec
	s_or_saveexec_b64 s[6:7], s[6:7]
	v_mov_b32_e32 v6, s10
	s_xor_b64 exec, exec, s[6:7]
	s_cbranch_execz .LBB4_496
.LBB4_1520:                             ;   in Loop: Header=BB4_62 Depth=1
	v_cmp_ne_u16_sdwa s[8:9], v35, v62 src0_sel:BYTE_1 src1_sel:DWORD
	s_andn2_b64 s[4:5], s[4:5], exec
	s_and_b64 s[8:9], s[8:9], exec
	v_mov_b32_e32 v6, 0
	s_or_b64 s[4:5], s[4:5], s[8:9]
	s_or_b64 exec, exec, s[6:7]
	s_and_saveexec_b64 s[6:7], s[4:5]
	s_cbranch_execnz .LBB4_497
	s_branch .LBB4_498
.LBB4_1521:                             ;   in Loop: Header=BB4_62 Depth=1
	v_cmp_eq_u16_e32 vcc, s25, v8
	s_mov_b64 s[4:5], -1
                                        ; implicit-def: $sgpr10
	s_and_saveexec_b64 s[8:9], vcc
; %bb.1522:                             ;   in Loop: Header=BB4_62 Depth=1
	s_mov_b32 s10, 0x7f800001
	s_xor_b64 s[4:5], exec, -1
; %bb.1523:                             ;   in Loop: Header=BB4_62 Depth=1
	s_or_b64 exec, exec, s[8:9]
	s_and_b64 s[4:5], s[4:5], exec
                                        ; implicit-def: $vgpr8
	s_or_saveexec_b64 s[6:7], s[6:7]
	v_mov_b32_e32 v7, s10
	s_xor_b64 exec, exec, s[6:7]
	s_cbranch_execz .LBB4_500
.LBB4_1524:                             ;   in Loop: Header=BB4_62 Depth=1
	v_cmp_ne_u16_e32 vcc, 0, v8
	s_andn2_b64 s[4:5], s[4:5], exec
	s_and_b64 s[8:9], vcc, exec
	v_mov_b32_e32 v7, 0
	s_or_b64 s[4:5], s[4:5], s[8:9]
	s_or_b64 exec, exec, s[6:7]
	s_and_saveexec_b64 s[6:7], s[4:5]
	s_cbranch_execnz .LBB4_501
	s_branch .LBB4_502
.LBB4_1525:                             ;   in Loop: Header=BB4_62 Depth=1
	v_cmp_eq_u16_e32 vcc, s25, v34
	s_mov_b64 s[4:5], -1
                                        ; implicit-def: $sgpr10
	s_and_saveexec_b64 s[8:9], vcc
; %bb.1526:                             ;   in Loop: Header=BB4_62 Depth=1
	s_mov_b32 s10, 0x7f800001
	s_xor_b64 s[4:5], exec, -1
; %bb.1527:                             ;   in Loop: Header=BB4_62 Depth=1
	s_or_b64 exec, exec, s[8:9]
	s_and_b64 s[4:5], s[4:5], exec
	s_or_saveexec_b64 s[6:7], s[6:7]
	v_mov_b32_e32 v69, s10
	s_xor_b64 exec, exec, s[6:7]
	s_cbranch_execz .LBB4_504
.LBB4_1528:                             ;   in Loop: Header=BB4_62 Depth=1
	v_cmp_ne_u16_e32 vcc, 0, v34
	s_andn2_b64 s[4:5], s[4:5], exec
	s_and_b64 s[8:9], vcc, exec
	v_mov_b32_e32 v69, 0
	s_or_b64 s[4:5], s[4:5], s[8:9]
	s_or_b64 exec, exec, s[6:7]
	s_and_saveexec_b64 s[6:7], s[4:5]
	s_cbranch_execnz .LBB4_505
	s_branch .LBB4_506
.LBB4_1529:                             ;   in Loop: Header=BB4_62 Depth=1
	v_cmp_eq_u16_sdwa s[12:13], v32, s25 src0_sel:BYTE_0 src1_sel:DWORD
	s_mov_b64 s[4:5], -1
                                        ; implicit-def: $sgpr10
	s_and_saveexec_b64 s[8:9], s[12:13]
; %bb.1530:                             ;   in Loop: Header=BB4_62 Depth=1
	s_mov_b32 s10, 0x7f800001
	s_xor_b64 s[4:5], exec, -1
; %bb.1531:                             ;   in Loop: Header=BB4_62 Depth=1
	s_or_b64 exec, exec, s[8:9]
	s_and_b64 s[4:5], s[4:5], exec
	s_or_saveexec_b64 s[6:7], s[6:7]
	v_mov_b32_e32 v0, s10
	s_xor_b64 exec, exec, s[6:7]
	s_cbranch_execz .LBB4_508
.LBB4_1532:                             ;   in Loop: Header=BB4_62 Depth=1
	v_cmp_ne_u16_sdwa s[8:9], v32, v62 src0_sel:BYTE_0 src1_sel:DWORD
	s_andn2_b64 s[4:5], s[4:5], exec
	s_and_b64 s[8:9], s[8:9], exec
	v_mov_b32_e32 v0, 0
	s_or_b64 s[4:5], s[4:5], s[8:9]
	s_or_b64 exec, exec, s[6:7]
	s_and_saveexec_b64 s[6:7], s[4:5]
	s_cbranch_execnz .LBB4_509
	s_branch .LBB4_510
.LBB4_1533:                             ;   in Loop: Header=BB4_62 Depth=1
	v_cmp_eq_u16_sdwa s[12:13], v32, s25 src0_sel:BYTE_1 src1_sel:DWORD
	s_mov_b64 s[4:5], -1
                                        ; implicit-def: $sgpr10
	s_and_saveexec_b64 s[8:9], s[12:13]
; %bb.1534:                             ;   in Loop: Header=BB4_62 Depth=1
	s_mov_b32 s10, 0x7f800001
	s_xor_b64 s[4:5], exec, -1
; %bb.1535:                             ;   in Loop: Header=BB4_62 Depth=1
	s_or_b64 exec, exec, s[8:9]
	s_and_b64 s[4:5], s[4:5], exec
	s_or_saveexec_b64 s[6:7], s[6:7]
	v_mov_b32_e32 v1, s10
	s_xor_b64 exec, exec, s[6:7]
	s_cbranch_execz .LBB4_512
.LBB4_1536:                             ;   in Loop: Header=BB4_62 Depth=1
	v_cmp_ne_u16_sdwa s[8:9], v32, v62 src0_sel:BYTE_1 src1_sel:DWORD
	s_andn2_b64 s[4:5], s[4:5], exec
	s_and_b64 s[8:9], s[8:9], exec
	v_mov_b32_e32 v1, 0
	s_or_b64 s[4:5], s[4:5], s[8:9]
	s_or_b64 exec, exec, s[6:7]
	s_and_saveexec_b64 s[6:7], s[4:5]
	s_cbranch_execnz .LBB4_513
	s_branch .LBB4_514
.LBB4_1537:                             ;   in Loop: Header=BB4_62 Depth=1
	v_cmp_eq_u16_e32 vcc, s25, v3
	s_mov_b64 s[4:5], -1
                                        ; implicit-def: $sgpr10
	s_and_saveexec_b64 s[8:9], vcc
; %bb.1538:                             ;   in Loop: Header=BB4_62 Depth=1
	s_mov_b32 s10, 0x7f800001
	s_xor_b64 s[4:5], exec, -1
; %bb.1539:                             ;   in Loop: Header=BB4_62 Depth=1
	s_or_b64 exec, exec, s[8:9]
	s_and_b64 s[4:5], s[4:5], exec
                                        ; implicit-def: $vgpr3
	s_or_saveexec_b64 s[6:7], s[6:7]
	v_mov_b32_e32 v2, s10
	s_xor_b64 exec, exec, s[6:7]
	s_cbranch_execz .LBB4_516
.LBB4_1540:                             ;   in Loop: Header=BB4_62 Depth=1
	v_cmp_ne_u16_e32 vcc, 0, v3
	s_andn2_b64 s[4:5], s[4:5], exec
	s_and_b64 s[8:9], vcc, exec
	v_mov_b32_e32 v2, 0
	s_or_b64 s[4:5], s[4:5], s[8:9]
	s_or_b64 exec, exec, s[6:7]
	s_and_saveexec_b64 s[6:7], s[4:5]
	s_cbranch_execnz .LBB4_517
	s_branch .LBB4_518
.LBB4_1541:                             ;   in Loop: Header=BB4_62 Depth=1
	v_cmp_eq_u16_e32 vcc, s25, v4
	s_mov_b64 s[4:5], -1
                                        ; implicit-def: $sgpr10
	s_and_saveexec_b64 s[8:9], vcc
; %bb.1542:                             ;   in Loop: Header=BB4_62 Depth=1
	s_mov_b32 s10, 0x7f800001
	s_xor_b64 s[4:5], exec, -1
; %bb.1543:                             ;   in Loop: Header=BB4_62 Depth=1
	s_or_b64 exec, exec, s[8:9]
	s_and_b64 s[4:5], s[4:5], exec
	s_or_saveexec_b64 s[6:7], s[6:7]
	v_mov_b32_e32 v3, s10
	s_xor_b64 exec, exec, s[6:7]
	s_cbranch_execz .LBB4_520
.LBB4_1544:                             ;   in Loop: Header=BB4_62 Depth=1
	v_cmp_ne_u16_e32 vcc, 0, v4
	s_andn2_b64 s[4:5], s[4:5], exec
	s_and_b64 s[8:9], vcc, exec
	v_mov_b32_e32 v3, 0
	s_or_b64 s[4:5], s[4:5], s[8:9]
	s_or_b64 exec, exec, s[6:7]
	s_and_saveexec_b64 s[6:7], s[4:5]
	s_cbranch_execnz .LBB4_521
	s_branch .LBB4_522
.LBB4_1545:                             ;   in Loop: Header=BB4_62 Depth=1
	v_cmp_eq_u16_sdwa s[12:13], v33, s25 src0_sel:BYTE_0 src1_sel:DWORD
	s_mov_b64 s[4:5], -1
                                        ; implicit-def: $sgpr10
	s_and_saveexec_b64 s[8:9], s[12:13]
; %bb.1546:                             ;   in Loop: Header=BB4_62 Depth=1
	s_mov_b32 s10, 0x7f800001
	s_xor_b64 s[4:5], exec, -1
; %bb.1547:                             ;   in Loop: Header=BB4_62 Depth=1
	s_or_b64 exec, exec, s[8:9]
	s_and_b64 s[4:5], s[4:5], exec
	s_or_saveexec_b64 s[6:7], s[6:7]
	v_mov_b32_e32 v32, s10
	s_xor_b64 exec, exec, s[6:7]
	s_cbranch_execz .LBB4_524
.LBB4_1548:                             ;   in Loop: Header=BB4_62 Depth=1
	v_cmp_ne_u16_sdwa s[8:9], v33, v62 src0_sel:BYTE_0 src1_sel:DWORD
	s_andn2_b64 s[4:5], s[4:5], exec
	s_and_b64 s[8:9], s[8:9], exec
	v_mov_b32_e32 v32, 0
	s_or_b64 s[4:5], s[4:5], s[8:9]
	s_or_b64 exec, exec, s[6:7]
	s_and_saveexec_b64 s[6:7], s[4:5]
	s_cbranch_execnz .LBB4_525
	s_branch .LBB4_526
.LBB4_1549:                             ;   in Loop: Header=BB4_62 Depth=1
	v_cmp_eq_u16_sdwa s[12:13], v33, s25 src0_sel:BYTE_1 src1_sel:DWORD
	s_mov_b64 s[4:5], -1
                                        ; implicit-def: $sgpr10
	s_and_saveexec_b64 s[8:9], s[12:13]
; %bb.1550:                             ;   in Loop: Header=BB4_62 Depth=1
	s_mov_b32 s10, 0x7f800001
	s_xor_b64 s[4:5], exec, -1
; %bb.1551:                             ;   in Loop: Header=BB4_62 Depth=1
	s_or_b64 exec, exec, s[8:9]
	s_and_b64 s[4:5], s[4:5], exec
	s_or_saveexec_b64 s[6:7], s[6:7]
	v_mov_b32_e32 v52, s10
	s_xor_b64 exec, exec, s[6:7]
	s_cbranch_execz .LBB4_528
.LBB4_1552:                             ;   in Loop: Header=BB4_62 Depth=1
	v_cmp_ne_u16_sdwa s[8:9], v33, v62 src0_sel:BYTE_1 src1_sel:DWORD
	s_andn2_b64 s[4:5], s[4:5], exec
	s_and_b64 s[8:9], s[8:9], exec
	v_mov_b32_e32 v52, 0
	s_or_b64 s[4:5], s[4:5], s[8:9]
	s_or_b64 exec, exec, s[6:7]
	s_and_saveexec_b64 s[6:7], s[4:5]
	s_cbranch_execnz .LBB4_529
	s_branch .LBB4_530
.LBB4_1553:                             ;   in Loop: Header=BB4_62 Depth=1
	v_cmp_eq_u16_e32 vcc, s25, v4
	s_mov_b64 s[4:5], -1
                                        ; implicit-def: $sgpr10
	s_and_saveexec_b64 s[8:9], vcc
; %bb.1554:                             ;   in Loop: Header=BB4_62 Depth=1
	s_mov_b32 s10, 0x7f800001
	s_xor_b64 s[4:5], exec, -1
; %bb.1555:                             ;   in Loop: Header=BB4_62 Depth=1
	s_or_b64 exec, exec, s[8:9]
	s_and_b64 s[4:5], s[4:5], exec
                                        ; implicit-def: $vgpr4
	s_or_saveexec_b64 s[6:7], s[6:7]
	v_mov_b32_e32 v53, s10
	s_xor_b64 exec, exec, s[6:7]
	s_cbranch_execz .LBB4_532
.LBB4_1556:                             ;   in Loop: Header=BB4_62 Depth=1
	v_cmp_ne_u16_e32 vcc, 0, v4
	s_andn2_b64 s[4:5], s[4:5], exec
	s_and_b64 s[8:9], vcc, exec
	v_mov_b32_e32 v53, 0
	s_or_b64 s[4:5], s[4:5], s[8:9]
	s_or_b64 exec, exec, s[6:7]
	s_and_saveexec_b64 s[6:7], s[4:5]
	s_cbranch_execnz .LBB4_533
	s_branch .LBB4_534
.LBB4_1557:                             ;   in Loop: Header=BB4_62 Depth=1
	v_cmp_eq_u16_e32 vcc, s25, v4
	s_mov_b64 s[4:5], -1
                                        ; implicit-def: $sgpr10
	s_and_saveexec_b64 s[8:9], vcc
; %bb.1558:                             ;   in Loop: Header=BB4_62 Depth=1
	s_mov_b32 s10, 0x7f800001
	s_xor_b64 s[4:5], exec, -1
; %bb.1559:                             ;   in Loop: Header=BB4_62 Depth=1
	s_or_b64 exec, exec, s[8:9]
	s_and_b64 s[4:5], s[4:5], exec
	s_or_saveexec_b64 s[6:7], s[6:7]
	v_mov_b32_e32 v54, s10
	s_xor_b64 exec, exec, s[6:7]
	s_cbranch_execz .LBB4_536
.LBB4_1560:                             ;   in Loop: Header=BB4_62 Depth=1
	v_cmp_ne_u16_e32 vcc, 0, v4
	s_andn2_b64 s[4:5], s[4:5], exec
	s_and_b64 s[8:9], vcc, exec
	v_mov_b32_e32 v54, 0
	s_or_b64 s[4:5], s[4:5], s[8:9]
	s_or_b64 exec, exec, s[6:7]
	s_and_saveexec_b64 s[6:7], s[4:5]
	s_cbranch_execnz .LBB4_537
	s_branch .LBB4_538
.LBB4_1561:                             ;   in Loop: Header=BB4_62 Depth=1
	v_cmp_eq_u16_sdwa s[12:13], v34, s25 src0_sel:BYTE_0 src1_sel:DWORD
	s_mov_b64 s[4:5], -1
                                        ; implicit-def: $sgpr10
	s_and_saveexec_b64 s[8:9], s[12:13]
; %bb.1562:                             ;   in Loop: Header=BB4_62 Depth=1
	s_mov_b32 s10, 0x7f800001
	s_xor_b64 s[4:5], exec, -1
; %bb.1563:                             ;   in Loop: Header=BB4_62 Depth=1
	s_or_b64 exec, exec, s[8:9]
	s_and_b64 s[4:5], s[4:5], exec
	s_or_saveexec_b64 s[6:7], s[6:7]
	v_mov_b32_e32 v33, s10
	s_xor_b64 exec, exec, s[6:7]
	s_cbranch_execz .LBB4_540
.LBB4_1564:                             ;   in Loop: Header=BB4_62 Depth=1
	v_cmp_ne_u16_sdwa s[8:9], v34, v62 src0_sel:BYTE_0 src1_sel:DWORD
	s_andn2_b64 s[4:5], s[4:5], exec
	s_and_b64 s[8:9], s[8:9], exec
	v_mov_b32_e32 v33, 0
	s_or_b64 s[4:5], s[4:5], s[8:9]
	s_or_b64 exec, exec, s[6:7]
	s_and_saveexec_b64 s[6:7], s[4:5]
	s_cbranch_execnz .LBB4_541
	s_branch .LBB4_542
.LBB4_1565:                             ;   in Loop: Header=BB4_62 Depth=1
	v_cmp_eq_u16_sdwa s[12:13], v34, s25 src0_sel:BYTE_1 src1_sel:DWORD
	s_mov_b64 s[4:5], -1
                                        ; implicit-def: $sgpr10
	s_and_saveexec_b64 s[8:9], s[12:13]
; %bb.1566:                             ;   in Loop: Header=BB4_62 Depth=1
	s_mov_b32 s10, 0x7f800001
	s_xor_b64 s[4:5], exec, -1
; %bb.1567:                             ;   in Loop: Header=BB4_62 Depth=1
	s_or_b64 exec, exec, s[8:9]
	s_and_b64 s[4:5], s[4:5], exec
	s_or_saveexec_b64 s[6:7], s[6:7]
	v_mov_b32_e32 v55, s10
	s_xor_b64 exec, exec, s[6:7]
	s_cbranch_execz .LBB4_544
.LBB4_1568:                             ;   in Loop: Header=BB4_62 Depth=1
	v_cmp_ne_u16_sdwa s[8:9], v34, v62 src0_sel:BYTE_1 src1_sel:DWORD
	s_andn2_b64 s[4:5], s[4:5], exec
	s_and_b64 s[8:9], s[8:9], exec
	v_mov_b32_e32 v55, 0
	s_or_b64 s[4:5], s[4:5], s[8:9]
	s_or_b64 exec, exec, s[6:7]
	s_and_saveexec_b64 s[6:7], s[4:5]
	s_cbranch_execnz .LBB4_545
	s_branch .LBB4_546
.LBB4_1569:                             ;   in Loop: Header=BB4_62 Depth=1
	v_cmp_eq_u16_e32 vcc, s25, v4
	s_mov_b64 s[4:5], -1
                                        ; implicit-def: $sgpr10
	s_and_saveexec_b64 s[8:9], vcc
; %bb.1570:                             ;   in Loop: Header=BB4_62 Depth=1
	s_mov_b32 s10, 0x7f800001
	s_xor_b64 s[4:5], exec, -1
; %bb.1571:                             ;   in Loop: Header=BB4_62 Depth=1
	s_or_b64 exec, exec, s[8:9]
	s_and_b64 s[4:5], s[4:5], exec
                                        ; implicit-def: $vgpr4
	s_or_saveexec_b64 s[6:7], s[6:7]
	v_mov_b32_e32 v65, s10
	s_xor_b64 exec, exec, s[6:7]
	s_cbranch_execz .LBB4_548
.LBB4_1572:                             ;   in Loop: Header=BB4_62 Depth=1
	v_cmp_ne_u16_e32 vcc, 0, v4
	s_andn2_b64 s[4:5], s[4:5], exec
	s_and_b64 s[8:9], vcc, exec
	v_mov_b32_e32 v65, 0
	s_or_b64 s[4:5], s[4:5], s[8:9]
	s_or_b64 exec, exec, s[6:7]
	s_and_saveexec_b64 s[6:7], s[4:5]
	s_cbranch_execnz .LBB4_549
	s_branch .LBB4_550
.LBB4_1573:                             ;   in Loop: Header=BB4_62 Depth=1
	v_cmp_eq_u16_e32 vcc, s25, v5
	s_mov_b64 s[4:5], -1
                                        ; implicit-def: $sgpr10
	s_and_saveexec_b64 s[8:9], vcc
; %bb.1574:                             ;   in Loop: Header=BB4_62 Depth=1
	s_mov_b32 s10, 0x7f800001
	s_xor_b64 s[4:5], exec, -1
; %bb.1575:                             ;   in Loop: Header=BB4_62 Depth=1
	s_or_b64 exec, exec, s[8:9]
	s_and_b64 s[4:5], s[4:5], exec
	s_or_saveexec_b64 s[6:7], s[6:7]
	v_mov_b32_e32 v4, s10
	s_xor_b64 exec, exec, s[6:7]
	s_cbranch_execz .LBB4_552
.LBB4_1576:                             ;   in Loop: Header=BB4_62 Depth=1
	v_cmp_ne_u16_e32 vcc, 0, v5
	s_andn2_b64 s[4:5], s[4:5], exec
	s_and_b64 s[8:9], vcc, exec
	v_mov_b32_e32 v4, 0
	s_or_b64 s[4:5], s[4:5], s[8:9]
	s_or_b64 exec, exec, s[6:7]
	s_and_saveexec_b64 s[6:7], s[4:5]
	s_cbranch_execnz .LBB4_553
	s_branch .LBB4_554
.LBB4_1577:                             ;   in Loop: Header=BB4_62 Depth=1
	v_cmp_eq_u16_sdwa s[12:13], v35, s25 src0_sel:BYTE_0 src1_sel:DWORD
	s_mov_b64 s[4:5], -1
                                        ; implicit-def: $sgpr10
	s_and_saveexec_b64 s[8:9], s[12:13]
; %bb.1578:                             ;   in Loop: Header=BB4_62 Depth=1
	s_mov_b32 s10, 0x7f800001
	s_xor_b64 s[4:5], exec, -1
; %bb.1579:                             ;   in Loop: Header=BB4_62 Depth=1
	s_or_b64 exec, exec, s[8:9]
	s_and_b64 s[4:5], s[4:5], exec
	s_or_saveexec_b64 s[6:7], s[6:7]
	v_mov_b32_e32 v5, s10
	s_xor_b64 exec, exec, s[6:7]
	s_cbranch_execz .LBB4_556
.LBB4_1580:                             ;   in Loop: Header=BB4_62 Depth=1
	v_cmp_ne_u16_sdwa s[8:9], v35, v62 src0_sel:BYTE_0 src1_sel:DWORD
	s_andn2_b64 s[4:5], s[4:5], exec
	s_and_b64 s[8:9], s[8:9], exec
	v_mov_b32_e32 v5, 0
	s_or_b64 s[4:5], s[4:5], s[8:9]
	s_or_b64 exec, exec, s[6:7]
	s_and_saveexec_b64 s[6:7], s[4:5]
	s_cbranch_execnz .LBB4_557
	s_branch .LBB4_558
.LBB4_1581:                             ;   in Loop: Header=BB4_62 Depth=1
	v_cmp_eq_u16_sdwa s[12:13], v35, s25 src0_sel:BYTE_1 src1_sel:DWORD
	s_mov_b64 s[4:5], -1
                                        ; implicit-def: $sgpr10
	s_and_saveexec_b64 s[8:9], s[12:13]
; %bb.1582:                             ;   in Loop: Header=BB4_62 Depth=1
	s_mov_b32 s10, 0x7f800001
	s_xor_b64 s[4:5], exec, -1
; %bb.1583:                             ;   in Loop: Header=BB4_62 Depth=1
	s_or_b64 exec, exec, s[8:9]
	s_and_b64 s[4:5], s[4:5], exec
	s_or_saveexec_b64 s[6:7], s[6:7]
	v_mov_b32_e32 v6, s10
	s_xor_b64 exec, exec, s[6:7]
	s_cbranch_execz .LBB4_560
.LBB4_1584:                             ;   in Loop: Header=BB4_62 Depth=1
	v_cmp_ne_u16_sdwa s[8:9], v35, v62 src0_sel:BYTE_1 src1_sel:DWORD
	s_andn2_b64 s[4:5], s[4:5], exec
	s_and_b64 s[8:9], s[8:9], exec
	v_mov_b32_e32 v6, 0
	s_or_b64 s[4:5], s[4:5], s[8:9]
	s_or_b64 exec, exec, s[6:7]
	s_and_saveexec_b64 s[6:7], s[4:5]
	s_cbranch_execnz .LBB4_561
	s_branch .LBB4_562
.LBB4_1585:                             ;   in Loop: Header=BB4_62 Depth=1
	v_cmp_eq_u16_e32 vcc, s25, v8
	s_mov_b64 s[4:5], -1
                                        ; implicit-def: $sgpr10
	s_and_saveexec_b64 s[8:9], vcc
; %bb.1586:                             ;   in Loop: Header=BB4_62 Depth=1
	s_mov_b32 s10, 0x7f800001
	s_xor_b64 s[4:5], exec, -1
; %bb.1587:                             ;   in Loop: Header=BB4_62 Depth=1
	s_or_b64 exec, exec, s[8:9]
	s_and_b64 s[4:5], s[4:5], exec
                                        ; implicit-def: $vgpr8
	s_or_saveexec_b64 s[6:7], s[6:7]
	v_mov_b32_e32 v7, s10
	s_xor_b64 exec, exec, s[6:7]
	s_cbranch_execz .LBB4_564
.LBB4_1588:                             ;   in Loop: Header=BB4_62 Depth=1
	v_cmp_ne_u16_e32 vcc, 0, v8
	s_andn2_b64 s[4:5], s[4:5], exec
	s_and_b64 s[8:9], vcc, exec
	v_mov_b32_e32 v7, 0
	s_or_b64 s[4:5], s[4:5], s[8:9]
	s_or_b64 exec, exec, s[6:7]
	s_and_saveexec_b64 s[6:7], s[4:5]
	s_cbranch_execnz .LBB4_565
	s_branch .LBB4_566
.LBB4_1589:                             ;   in Loop: Header=BB4_62 Depth=1
	v_cmp_eq_u16_e32 vcc, s25, v34
	s_mov_b64 s[4:5], -1
                                        ; implicit-def: $sgpr10
	s_and_saveexec_b64 s[8:9], vcc
; %bb.1590:                             ;   in Loop: Header=BB4_62 Depth=1
	s_mov_b32 s10, 0x7f800001
	s_xor_b64 s[4:5], exec, -1
; %bb.1591:                             ;   in Loop: Header=BB4_62 Depth=1
	s_or_b64 exec, exec, s[8:9]
	s_and_b64 s[4:5], s[4:5], exec
	s_or_saveexec_b64 s[6:7], s[6:7]
	v_mov_b32_e32 v66, s10
	s_xor_b64 exec, exec, s[6:7]
	s_cbranch_execz .LBB4_568
.LBB4_1592:                             ;   in Loop: Header=BB4_62 Depth=1
	v_cmp_ne_u16_e32 vcc, 0, v34
	s_andn2_b64 s[4:5], s[4:5], exec
	s_and_b64 s[8:9], vcc, exec
	v_mov_b32_e32 v66, 0
	s_or_b64 s[4:5], s[4:5], s[8:9]
	s_or_b64 exec, exec, s[6:7]
	s_and_saveexec_b64 s[6:7], s[4:5]
	s_cbranch_execnz .LBB4_569
	s_branch .LBB4_570
.LBB4_1593:                             ;   in Loop: Header=BB4_62 Depth=1
	v_cmp_eq_u16_sdwa s[12:13], v32, s25 src0_sel:BYTE_0 src1_sel:DWORD
	s_mov_b64 s[4:5], -1
                                        ; implicit-def: $sgpr10
	s_and_saveexec_b64 s[8:9], s[12:13]
; %bb.1594:                             ;   in Loop: Header=BB4_62 Depth=1
	s_mov_b32 s10, 0x7f800001
	s_xor_b64 s[4:5], exec, -1
; %bb.1595:                             ;   in Loop: Header=BB4_62 Depth=1
	s_or_b64 exec, exec, s[8:9]
	s_and_b64 s[4:5], s[4:5], exec
	s_or_saveexec_b64 s[6:7], s[6:7]
	v_mov_b32_e32 v0, s10
	s_xor_b64 exec, exec, s[6:7]
	s_cbranch_execz .LBB4_572
.LBB4_1596:                             ;   in Loop: Header=BB4_62 Depth=1
	v_cmp_ne_u16_sdwa s[8:9], v32, v62 src0_sel:BYTE_0 src1_sel:DWORD
	s_andn2_b64 s[4:5], s[4:5], exec
	s_and_b64 s[8:9], s[8:9], exec
	v_mov_b32_e32 v0, 0
	s_or_b64 s[4:5], s[4:5], s[8:9]
	s_or_b64 exec, exec, s[6:7]
	s_and_saveexec_b64 s[6:7], s[4:5]
	s_cbranch_execnz .LBB4_573
	s_branch .LBB4_574
.LBB4_1597:                             ;   in Loop: Header=BB4_62 Depth=1
	v_cmp_eq_u16_sdwa s[12:13], v32, s25 src0_sel:BYTE_1 src1_sel:DWORD
	s_mov_b64 s[4:5], -1
                                        ; implicit-def: $sgpr10
	s_and_saveexec_b64 s[8:9], s[12:13]
; %bb.1598:                             ;   in Loop: Header=BB4_62 Depth=1
	s_mov_b32 s10, 0x7f800001
	s_xor_b64 s[4:5], exec, -1
; %bb.1599:                             ;   in Loop: Header=BB4_62 Depth=1
	s_or_b64 exec, exec, s[8:9]
	s_and_b64 s[4:5], s[4:5], exec
	s_or_saveexec_b64 s[6:7], s[6:7]
	v_mov_b32_e32 v1, s10
	s_xor_b64 exec, exec, s[6:7]
	s_cbranch_execz .LBB4_576
.LBB4_1600:                             ;   in Loop: Header=BB4_62 Depth=1
	v_cmp_ne_u16_sdwa s[8:9], v32, v62 src0_sel:BYTE_1 src1_sel:DWORD
	s_andn2_b64 s[4:5], s[4:5], exec
	s_and_b64 s[8:9], s[8:9], exec
	v_mov_b32_e32 v1, 0
	s_or_b64 s[4:5], s[4:5], s[8:9]
	s_or_b64 exec, exec, s[6:7]
	s_and_saveexec_b64 s[6:7], s[4:5]
	s_cbranch_execnz .LBB4_577
	s_branch .LBB4_578
.LBB4_1601:                             ;   in Loop: Header=BB4_62 Depth=1
	v_cmp_eq_u16_e32 vcc, s25, v3
	s_mov_b64 s[4:5], -1
                                        ; implicit-def: $sgpr10
	s_and_saveexec_b64 s[8:9], vcc
; %bb.1602:                             ;   in Loop: Header=BB4_62 Depth=1
	s_mov_b32 s10, 0x7f800001
	s_xor_b64 s[4:5], exec, -1
; %bb.1603:                             ;   in Loop: Header=BB4_62 Depth=1
	s_or_b64 exec, exec, s[8:9]
	s_and_b64 s[4:5], s[4:5], exec
                                        ; implicit-def: $vgpr3
	s_or_saveexec_b64 s[6:7], s[6:7]
	v_mov_b32_e32 v2, s10
	s_xor_b64 exec, exec, s[6:7]
	s_cbranch_execz .LBB4_580
.LBB4_1604:                             ;   in Loop: Header=BB4_62 Depth=1
	v_cmp_ne_u16_e32 vcc, 0, v3
	s_andn2_b64 s[4:5], s[4:5], exec
	s_and_b64 s[8:9], vcc, exec
	v_mov_b32_e32 v2, 0
	s_or_b64 s[4:5], s[4:5], s[8:9]
	s_or_b64 exec, exec, s[6:7]
	s_and_saveexec_b64 s[6:7], s[4:5]
	s_cbranch_execnz .LBB4_581
	s_branch .LBB4_582
.LBB4_1605:                             ;   in Loop: Header=BB4_62 Depth=1
	v_cmp_eq_u16_e32 vcc, s25, v4
	s_mov_b64 s[4:5], -1
                                        ; implicit-def: $sgpr10
	s_and_saveexec_b64 s[8:9], vcc
; %bb.1606:                             ;   in Loop: Header=BB4_62 Depth=1
	s_mov_b32 s10, 0x7f800001
	s_xor_b64 s[4:5], exec, -1
; %bb.1607:                             ;   in Loop: Header=BB4_62 Depth=1
	s_or_b64 exec, exec, s[8:9]
	s_and_b64 s[4:5], s[4:5], exec
	s_or_saveexec_b64 s[6:7], s[6:7]
	v_mov_b32_e32 v3, s10
	s_xor_b64 exec, exec, s[6:7]
	s_cbranch_execz .LBB4_584
.LBB4_1608:                             ;   in Loop: Header=BB4_62 Depth=1
	v_cmp_ne_u16_e32 vcc, 0, v4
	s_andn2_b64 s[4:5], s[4:5], exec
	s_and_b64 s[8:9], vcc, exec
	v_mov_b32_e32 v3, 0
	s_or_b64 s[4:5], s[4:5], s[8:9]
	s_or_b64 exec, exec, s[6:7]
	s_and_saveexec_b64 s[6:7], s[4:5]
	s_cbranch_execnz .LBB4_585
	s_branch .LBB4_586
.LBB4_1609:                             ;   in Loop: Header=BB4_62 Depth=1
	v_cmp_eq_u16_sdwa s[12:13], v33, s25 src0_sel:BYTE_0 src1_sel:DWORD
	s_mov_b64 s[4:5], -1
                                        ; implicit-def: $sgpr10
	s_and_saveexec_b64 s[8:9], s[12:13]
; %bb.1610:                             ;   in Loop: Header=BB4_62 Depth=1
	s_mov_b32 s10, 0x7f800001
	s_xor_b64 s[4:5], exec, -1
; %bb.1611:                             ;   in Loop: Header=BB4_62 Depth=1
	s_or_b64 exec, exec, s[8:9]
	s_and_b64 s[4:5], s[4:5], exec
	s_or_saveexec_b64 s[6:7], s[6:7]
	v_mov_b32_e32 v32, s10
	s_xor_b64 exec, exec, s[6:7]
	s_cbranch_execz .LBB4_588
.LBB4_1612:                             ;   in Loop: Header=BB4_62 Depth=1
	v_cmp_ne_u16_sdwa s[8:9], v33, v62 src0_sel:BYTE_0 src1_sel:DWORD
	s_andn2_b64 s[4:5], s[4:5], exec
	s_and_b64 s[8:9], s[8:9], exec
	v_mov_b32_e32 v32, 0
	s_or_b64 s[4:5], s[4:5], s[8:9]
	s_or_b64 exec, exec, s[6:7]
	s_and_saveexec_b64 s[6:7], s[4:5]
	s_cbranch_execnz .LBB4_589
	s_branch .LBB4_590
.LBB4_1613:                             ;   in Loop: Header=BB4_62 Depth=1
	v_cmp_eq_u16_sdwa s[12:13], v33, s25 src0_sel:BYTE_1 src1_sel:DWORD
	s_mov_b64 s[4:5], -1
                                        ; implicit-def: $sgpr10
	s_and_saveexec_b64 s[8:9], s[12:13]
; %bb.1614:                             ;   in Loop: Header=BB4_62 Depth=1
	s_mov_b32 s10, 0x7f800001
	s_xor_b64 s[4:5], exec, -1
; %bb.1615:                             ;   in Loop: Header=BB4_62 Depth=1
	s_or_b64 exec, exec, s[8:9]
	s_and_b64 s[4:5], s[4:5], exec
	s_or_saveexec_b64 s[6:7], s[6:7]
	v_mov_b32_e32 v36, s10
	s_xor_b64 exec, exec, s[6:7]
	s_cbranch_execz .LBB4_592
.LBB4_1616:                             ;   in Loop: Header=BB4_62 Depth=1
	v_cmp_ne_u16_sdwa s[8:9], v33, v62 src0_sel:BYTE_1 src1_sel:DWORD
	s_andn2_b64 s[4:5], s[4:5], exec
	s_and_b64 s[8:9], s[8:9], exec
	v_mov_b32_e32 v36, 0
	s_or_b64 s[4:5], s[4:5], s[8:9]
	s_or_b64 exec, exec, s[6:7]
	s_and_saveexec_b64 s[6:7], s[4:5]
	s_cbranch_execnz .LBB4_593
	s_branch .LBB4_594
.LBB4_1617:                             ;   in Loop: Header=BB4_62 Depth=1
	v_cmp_eq_u16_e32 vcc, s25, v4
	s_mov_b64 s[4:5], -1
                                        ; implicit-def: $sgpr10
	s_and_saveexec_b64 s[8:9], vcc
; %bb.1618:                             ;   in Loop: Header=BB4_62 Depth=1
	s_mov_b32 s10, 0x7f800001
	s_xor_b64 s[4:5], exec, -1
; %bb.1619:                             ;   in Loop: Header=BB4_62 Depth=1
	s_or_b64 exec, exec, s[8:9]
	s_and_b64 s[4:5], s[4:5], exec
                                        ; implicit-def: $vgpr4
	s_or_saveexec_b64 s[6:7], s[6:7]
	v_mov_b32_e32 v37, s10
	s_xor_b64 exec, exec, s[6:7]
	s_cbranch_execz .LBB4_596
.LBB4_1620:                             ;   in Loop: Header=BB4_62 Depth=1
	v_cmp_ne_u16_e32 vcc, 0, v4
	s_andn2_b64 s[4:5], s[4:5], exec
	s_and_b64 s[8:9], vcc, exec
	v_mov_b32_e32 v37, 0
	s_or_b64 s[4:5], s[4:5], s[8:9]
	s_or_b64 exec, exec, s[6:7]
	s_and_saveexec_b64 s[6:7], s[4:5]
	s_cbranch_execnz .LBB4_597
	s_branch .LBB4_598
.LBB4_1621:                             ;   in Loop: Header=BB4_62 Depth=1
	v_cmp_eq_u16_e32 vcc, s25, v4
	s_mov_b64 s[4:5], -1
                                        ; implicit-def: $sgpr10
	s_and_saveexec_b64 s[8:9], vcc
; %bb.1622:                             ;   in Loop: Header=BB4_62 Depth=1
	s_mov_b32 s10, 0x7f800001
	s_xor_b64 s[4:5], exec, -1
; %bb.1623:                             ;   in Loop: Header=BB4_62 Depth=1
	s_or_b64 exec, exec, s[8:9]
	s_and_b64 s[4:5], s[4:5], exec
	s_or_saveexec_b64 s[6:7], s[6:7]
	v_mov_b32_e32 v38, s10
	s_xor_b64 exec, exec, s[6:7]
	s_cbranch_execz .LBB4_600
.LBB4_1624:                             ;   in Loop: Header=BB4_62 Depth=1
	v_cmp_ne_u16_e32 vcc, 0, v4
	s_andn2_b64 s[4:5], s[4:5], exec
	s_and_b64 s[8:9], vcc, exec
	v_mov_b32_e32 v38, 0
	s_or_b64 s[4:5], s[4:5], s[8:9]
	s_or_b64 exec, exec, s[6:7]
	s_and_saveexec_b64 s[6:7], s[4:5]
	s_cbranch_execnz .LBB4_601
	s_branch .LBB4_602
.LBB4_1625:                             ;   in Loop: Header=BB4_62 Depth=1
	v_cmp_eq_u16_sdwa s[12:13], v34, s25 src0_sel:BYTE_0 src1_sel:DWORD
	s_mov_b64 s[4:5], -1
                                        ; implicit-def: $sgpr10
	s_and_saveexec_b64 s[8:9], s[12:13]
; %bb.1626:                             ;   in Loop: Header=BB4_62 Depth=1
	s_mov_b32 s10, 0x7f800001
	s_xor_b64 s[4:5], exec, -1
; %bb.1627:                             ;   in Loop: Header=BB4_62 Depth=1
	s_or_b64 exec, exec, s[8:9]
	s_and_b64 s[4:5], s[4:5], exec
	s_or_saveexec_b64 s[6:7], s[6:7]
	v_mov_b32_e32 v33, s10
	s_xor_b64 exec, exec, s[6:7]
	s_cbranch_execz .LBB4_604
.LBB4_1628:                             ;   in Loop: Header=BB4_62 Depth=1
	v_cmp_ne_u16_sdwa s[8:9], v34, v62 src0_sel:BYTE_0 src1_sel:DWORD
	s_andn2_b64 s[4:5], s[4:5], exec
	s_and_b64 s[8:9], s[8:9], exec
	v_mov_b32_e32 v33, 0
	s_or_b64 s[4:5], s[4:5], s[8:9]
	s_or_b64 exec, exec, s[6:7]
	s_and_saveexec_b64 s[6:7], s[4:5]
	s_cbranch_execnz .LBB4_605
	s_branch .LBB4_606
.LBB4_1629:                             ;   in Loop: Header=BB4_62 Depth=1
	v_cmp_eq_u16_sdwa s[12:13], v34, s25 src0_sel:BYTE_1 src1_sel:DWORD
	s_mov_b64 s[4:5], -1
                                        ; implicit-def: $sgpr10
	s_and_saveexec_b64 s[8:9], s[12:13]
; %bb.1630:                             ;   in Loop: Header=BB4_62 Depth=1
	s_mov_b32 s10, 0x7f800001
	s_xor_b64 s[4:5], exec, -1
; %bb.1631:                             ;   in Loop: Header=BB4_62 Depth=1
	s_or_b64 exec, exec, s[8:9]
	s_and_b64 s[4:5], s[4:5], exec
	s_or_saveexec_b64 s[6:7], s[6:7]
	v_mov_b32_e32 v39, s10
	s_xor_b64 exec, exec, s[6:7]
	s_cbranch_execz .LBB4_608
.LBB4_1632:                             ;   in Loop: Header=BB4_62 Depth=1
	v_cmp_ne_u16_sdwa s[8:9], v34, v62 src0_sel:BYTE_1 src1_sel:DWORD
	s_andn2_b64 s[4:5], s[4:5], exec
	s_and_b64 s[8:9], s[8:9], exec
	v_mov_b32_e32 v39, 0
	s_or_b64 s[4:5], s[4:5], s[8:9]
	s_or_b64 exec, exec, s[6:7]
	s_and_saveexec_b64 s[6:7], s[4:5]
	s_cbranch_execnz .LBB4_609
	s_branch .LBB4_610
.LBB4_1633:                             ;   in Loop: Header=BB4_62 Depth=1
	v_cmp_eq_u16_e32 vcc, s25, v4
	s_mov_b64 s[4:5], -1
                                        ; implicit-def: $sgpr10
	s_and_saveexec_b64 s[8:9], vcc
; %bb.1634:                             ;   in Loop: Header=BB4_62 Depth=1
	s_mov_b32 s10, 0x7f800001
	s_xor_b64 s[4:5], exec, -1
; %bb.1635:                             ;   in Loop: Header=BB4_62 Depth=1
	s_or_b64 exec, exec, s[8:9]
	s_and_b64 s[4:5], s[4:5], exec
                                        ; implicit-def: $vgpr4
	s_or_saveexec_b64 s[6:7], s[6:7]
	v_mov_b32_e32 v48, s10
	s_xor_b64 exec, exec, s[6:7]
	s_cbranch_execz .LBB4_612
.LBB4_1636:                             ;   in Loop: Header=BB4_62 Depth=1
	v_cmp_ne_u16_e32 vcc, 0, v4
	s_andn2_b64 s[4:5], s[4:5], exec
	s_and_b64 s[8:9], vcc, exec
	v_mov_b32_e32 v48, 0
	s_or_b64 s[4:5], s[4:5], s[8:9]
	s_or_b64 exec, exec, s[6:7]
	s_and_saveexec_b64 s[6:7], s[4:5]
	s_cbranch_execnz .LBB4_613
	s_branch .LBB4_614
.LBB4_1637:                             ;   in Loop: Header=BB4_62 Depth=1
	v_cmp_eq_u16_e32 vcc, s25, v5
	s_mov_b64 s[4:5], -1
                                        ; implicit-def: $sgpr10
	s_and_saveexec_b64 s[8:9], vcc
; %bb.1638:                             ;   in Loop: Header=BB4_62 Depth=1
	s_mov_b32 s10, 0x7f800001
	s_xor_b64 s[4:5], exec, -1
; %bb.1639:                             ;   in Loop: Header=BB4_62 Depth=1
	s_or_b64 exec, exec, s[8:9]
	s_and_b64 s[4:5], s[4:5], exec
	s_or_saveexec_b64 s[6:7], s[6:7]
	v_mov_b32_e32 v4, s10
	s_xor_b64 exec, exec, s[6:7]
	s_cbranch_execz .LBB4_616
.LBB4_1640:                             ;   in Loop: Header=BB4_62 Depth=1
	v_cmp_ne_u16_e32 vcc, 0, v5
	s_andn2_b64 s[4:5], s[4:5], exec
	s_and_b64 s[8:9], vcc, exec
	v_mov_b32_e32 v4, 0
	s_or_b64 s[4:5], s[4:5], s[8:9]
	s_or_b64 exec, exec, s[6:7]
	s_and_saveexec_b64 s[6:7], s[4:5]
	s_cbranch_execnz .LBB4_617
	s_branch .LBB4_618
.LBB4_1641:                             ;   in Loop: Header=BB4_62 Depth=1
	v_cmp_eq_u16_sdwa s[12:13], v35, s25 src0_sel:BYTE_0 src1_sel:DWORD
	s_mov_b64 s[4:5], -1
                                        ; implicit-def: $sgpr10
	s_and_saveexec_b64 s[8:9], s[12:13]
; %bb.1642:                             ;   in Loop: Header=BB4_62 Depth=1
	s_mov_b32 s10, 0x7f800001
	s_xor_b64 s[4:5], exec, -1
; %bb.1643:                             ;   in Loop: Header=BB4_62 Depth=1
	s_or_b64 exec, exec, s[8:9]
	s_and_b64 s[4:5], s[4:5], exec
	s_or_saveexec_b64 s[6:7], s[6:7]
	v_mov_b32_e32 v5, s10
	s_xor_b64 exec, exec, s[6:7]
	s_cbranch_execz .LBB4_620
.LBB4_1644:                             ;   in Loop: Header=BB4_62 Depth=1
	v_cmp_ne_u16_sdwa s[8:9], v35, v62 src0_sel:BYTE_0 src1_sel:DWORD
	s_andn2_b64 s[4:5], s[4:5], exec
	s_and_b64 s[8:9], s[8:9], exec
	v_mov_b32_e32 v5, 0
	s_or_b64 s[4:5], s[4:5], s[8:9]
	s_or_b64 exec, exec, s[6:7]
	s_and_saveexec_b64 s[6:7], s[4:5]
	s_cbranch_execnz .LBB4_621
	s_branch .LBB4_622
.LBB4_1645:                             ;   in Loop: Header=BB4_62 Depth=1
	v_cmp_eq_u16_sdwa s[12:13], v35, s25 src0_sel:BYTE_1 src1_sel:DWORD
	s_mov_b64 s[4:5], -1
                                        ; implicit-def: $sgpr10
	s_and_saveexec_b64 s[8:9], s[12:13]
; %bb.1646:                             ;   in Loop: Header=BB4_62 Depth=1
	s_mov_b32 s10, 0x7f800001
	s_xor_b64 s[4:5], exec, -1
; %bb.1647:                             ;   in Loop: Header=BB4_62 Depth=1
	s_or_b64 exec, exec, s[8:9]
	s_and_b64 s[4:5], s[4:5], exec
	s_or_saveexec_b64 s[6:7], s[6:7]
	v_mov_b32_e32 v6, s10
	s_xor_b64 exec, exec, s[6:7]
	s_cbranch_execz .LBB4_624
.LBB4_1648:                             ;   in Loop: Header=BB4_62 Depth=1
	v_cmp_ne_u16_sdwa s[8:9], v35, v62 src0_sel:BYTE_1 src1_sel:DWORD
	s_andn2_b64 s[4:5], s[4:5], exec
	s_and_b64 s[8:9], s[8:9], exec
	v_mov_b32_e32 v6, 0
	s_or_b64 s[4:5], s[4:5], s[8:9]
	s_or_b64 exec, exec, s[6:7]
	s_and_saveexec_b64 s[6:7], s[4:5]
	s_cbranch_execnz .LBB4_625
	s_branch .LBB4_626
.LBB4_1649:                             ;   in Loop: Header=BB4_62 Depth=1
	v_cmp_eq_u16_e32 vcc, s25, v8
	s_mov_b64 s[4:5], -1
                                        ; implicit-def: $sgpr10
	s_and_saveexec_b64 s[8:9], vcc
; %bb.1650:                             ;   in Loop: Header=BB4_62 Depth=1
	s_mov_b32 s10, 0x7f800001
	s_xor_b64 s[4:5], exec, -1
; %bb.1651:                             ;   in Loop: Header=BB4_62 Depth=1
	s_or_b64 exec, exec, s[8:9]
	s_and_b64 s[4:5], s[4:5], exec
                                        ; implicit-def: $vgpr8
	s_or_saveexec_b64 s[6:7], s[6:7]
	v_mov_b32_e32 v7, s10
	s_xor_b64 exec, exec, s[6:7]
	s_cbranch_execz .LBB4_628
.LBB4_1652:                             ;   in Loop: Header=BB4_62 Depth=1
	v_cmp_ne_u16_e32 vcc, 0, v8
	s_andn2_b64 s[4:5], s[4:5], exec
	s_and_b64 s[8:9], vcc, exec
	v_mov_b32_e32 v7, 0
	s_or_b64 s[4:5], s[4:5], s[8:9]
	s_or_b64 exec, exec, s[6:7]
	s_and_saveexec_b64 s[6:7], s[4:5]
	s_cbranch_execnz .LBB4_629
	s_branch .LBB4_630
.LBB4_1653:                             ;   in Loop: Header=BB4_62 Depth=1
	v_cmp_eq_u16_e32 vcc, s25, v34
	s_mov_b64 s[4:5], -1
                                        ; implicit-def: $sgpr10
	s_and_saveexec_b64 s[8:9], vcc
; %bb.1654:                             ;   in Loop: Header=BB4_62 Depth=1
	s_mov_b32 s10, 0x7f800001
	s_xor_b64 s[4:5], exec, -1
; %bb.1655:                             ;   in Loop: Header=BB4_62 Depth=1
	s_or_b64 exec, exec, s[8:9]
	s_and_b64 s[4:5], s[4:5], exec
	s_or_saveexec_b64 s[6:7], s[6:7]
	v_mov_b32_e32 v49, s10
	s_xor_b64 exec, exec, s[6:7]
	s_cbranch_execz .LBB4_632
.LBB4_1656:                             ;   in Loop: Header=BB4_62 Depth=1
	v_cmp_ne_u16_e32 vcc, 0, v34
	s_andn2_b64 s[4:5], s[4:5], exec
	s_and_b64 s[8:9], vcc, exec
	v_mov_b32_e32 v49, 0
	s_or_b64 s[4:5], s[4:5], s[8:9]
	s_or_b64 exec, exec, s[6:7]
	s_and_saveexec_b64 s[6:7], s[4:5]
	s_cbranch_execnz .LBB4_633
	s_branch .LBB4_634
.LBB4_1657:                             ;   in Loop: Header=BB4_62 Depth=1
	v_cmp_eq_u16_sdwa s[12:13], v96, s25 src0_sel:BYTE_0 src1_sel:DWORD
	s_mov_b64 s[4:5], -1
                                        ; implicit-def: $sgpr10
	s_and_saveexec_b64 s[8:9], s[12:13]
; %bb.1658:                             ;   in Loop: Header=BB4_62 Depth=1
	s_mov_b32 s10, 0x7f800001
	s_xor_b64 s[4:5], exec, -1
; %bb.1659:                             ;   in Loop: Header=BB4_62 Depth=1
	s_or_b64 exec, exec, s[8:9]
	s_and_b64 s[4:5], s[4:5], exec
	s_or_saveexec_b64 s[6:7], s[6:7]
	v_mov_b32_e32 v0, s10
	s_xor_b64 exec, exec, s[6:7]
	s_cbranch_execz .LBB4_636
.LBB4_1660:                             ;   in Loop: Header=BB4_62 Depth=1
	v_cmp_ne_u16_sdwa s[8:9], v96, v62 src0_sel:BYTE_0 src1_sel:DWORD
	s_andn2_b64 s[4:5], s[4:5], exec
	s_and_b64 s[8:9], s[8:9], exec
	v_mov_b32_e32 v0, 0
	s_or_b64 s[4:5], s[4:5], s[8:9]
	s_or_b64 exec, exec, s[6:7]
	s_and_saveexec_b64 s[6:7], s[4:5]
	s_cbranch_execnz .LBB4_637
	s_branch .LBB4_638
.LBB4_1661:                             ;   in Loop: Header=BB4_62 Depth=1
	v_cmp_eq_u16_sdwa s[12:13], v96, s25 src0_sel:BYTE_1 src1_sel:DWORD
	s_mov_b64 s[4:5], -1
                                        ; implicit-def: $sgpr10
	s_and_saveexec_b64 s[8:9], s[12:13]
; %bb.1662:                             ;   in Loop: Header=BB4_62 Depth=1
	s_mov_b32 s10, 0x7f800001
	s_xor_b64 s[4:5], exec, -1
; %bb.1663:                             ;   in Loop: Header=BB4_62 Depth=1
	s_or_b64 exec, exec, s[8:9]
	s_and_b64 s[4:5], s[4:5], exec
	s_or_saveexec_b64 s[6:7], s[6:7]
	v_mov_b32_e32 v1, s10
	s_xor_b64 exec, exec, s[6:7]
	s_cbranch_execz .LBB4_640
.LBB4_1664:                             ;   in Loop: Header=BB4_62 Depth=1
	v_cmp_ne_u16_sdwa s[8:9], v96, v62 src0_sel:BYTE_1 src1_sel:DWORD
	s_andn2_b64 s[4:5], s[4:5], exec
	s_and_b64 s[8:9], s[8:9], exec
	v_mov_b32_e32 v1, 0
	s_or_b64 s[4:5], s[4:5], s[8:9]
	s_or_b64 exec, exec, s[6:7]
	s_and_saveexec_b64 s[6:7], s[4:5]
	s_cbranch_execnz .LBB4_641
	s_branch .LBB4_642
.LBB4_1665:                             ;   in Loop: Header=BB4_62 Depth=1
	v_cmp_eq_u16_e32 vcc, s25, v3
	s_mov_b64 s[4:5], -1
                                        ; implicit-def: $sgpr10
	s_and_saveexec_b64 s[8:9], vcc
; %bb.1666:                             ;   in Loop: Header=BB4_62 Depth=1
	s_mov_b32 s10, 0x7f800001
	s_xor_b64 s[4:5], exec, -1
; %bb.1667:                             ;   in Loop: Header=BB4_62 Depth=1
	s_or_b64 exec, exec, s[8:9]
	s_and_b64 s[4:5], s[4:5], exec
                                        ; implicit-def: $vgpr3
	s_or_saveexec_b64 s[6:7], s[6:7]
	v_mov_b32_e32 v2, s10
	s_xor_b64 exec, exec, s[6:7]
	s_cbranch_execz .LBB4_644
.LBB4_1668:                             ;   in Loop: Header=BB4_62 Depth=1
	v_cmp_ne_u16_e32 vcc, 0, v3
	s_andn2_b64 s[4:5], s[4:5], exec
	s_and_b64 s[8:9], vcc, exec
	v_mov_b32_e32 v2, 0
	s_or_b64 s[4:5], s[4:5], s[8:9]
	s_or_b64 exec, exec, s[6:7]
	s_and_saveexec_b64 s[6:7], s[4:5]
	s_cbranch_execnz .LBB4_645
	s_branch .LBB4_646
.LBB4_1669:                             ;   in Loop: Header=BB4_62 Depth=1
	v_cmp_eq_u16_e32 vcc, s25, v4
	s_mov_b64 s[4:5], -1
                                        ; implicit-def: $sgpr10
	s_and_saveexec_b64 s[8:9], vcc
; %bb.1670:                             ;   in Loop: Header=BB4_62 Depth=1
	s_mov_b32 s10, 0x7f800001
	s_xor_b64 s[4:5], exec, -1
; %bb.1671:                             ;   in Loop: Header=BB4_62 Depth=1
	s_or_b64 exec, exec, s[8:9]
	s_and_b64 s[4:5], s[4:5], exec
	s_or_saveexec_b64 s[6:7], s[6:7]
	v_mov_b32_e32 v3, s10
	s_xor_b64 exec, exec, s[6:7]
	s_cbranch_execz .LBB4_648
.LBB4_1672:                             ;   in Loop: Header=BB4_62 Depth=1
	v_cmp_ne_u16_e32 vcc, 0, v4
	s_andn2_b64 s[4:5], s[4:5], exec
	s_and_b64 s[8:9], vcc, exec
	v_mov_b32_e32 v3, 0
	s_or_b64 s[4:5], s[4:5], s[8:9]
	s_or_b64 exec, exec, s[6:7]
	s_and_saveexec_b64 s[6:7], s[4:5]
	s_cbranch_execnz .LBB4_649
	s_branch .LBB4_650
.LBB4_1673:                             ;   in Loop: Header=BB4_62 Depth=1
	v_cmp_eq_u16_sdwa s[12:13], v97, s25 src0_sel:BYTE_0 src1_sel:DWORD
	s_mov_b64 s[4:5], -1
                                        ; implicit-def: $sgpr10
	s_and_saveexec_b64 s[8:9], s[12:13]
; %bb.1674:                             ;   in Loop: Header=BB4_62 Depth=1
	s_mov_b32 s10, 0x7f800001
	s_xor_b64 s[4:5], exec, -1
; %bb.1675:                             ;   in Loop: Header=BB4_62 Depth=1
	s_or_b64 exec, exec, s[8:9]
	s_and_b64 s[4:5], s[4:5], exec
	s_or_saveexec_b64 s[6:7], s[6:7]
	v_mov_b32_e32 v96, s10
	s_xor_b64 exec, exec, s[6:7]
	s_cbranch_execz .LBB4_652
.LBB4_1676:                             ;   in Loop: Header=BB4_62 Depth=1
	v_cmp_ne_u16_sdwa s[8:9], v97, v62 src0_sel:BYTE_0 src1_sel:DWORD
	s_andn2_b64 s[4:5], s[4:5], exec
	s_and_b64 s[8:9], s[8:9], exec
	v_mov_b32_e32 v96, 0
	s_or_b64 s[4:5], s[4:5], s[8:9]
	s_or_b64 exec, exec, s[6:7]
	s_and_saveexec_b64 s[6:7], s[4:5]
	s_cbranch_execnz .LBB4_653
	s_branch .LBB4_654
.LBB4_1677:                             ;   in Loop: Header=BB4_62 Depth=1
	v_cmp_eq_u16_sdwa s[12:13], v97, s25 src0_sel:BYTE_1 src1_sel:DWORD
	s_mov_b64 s[4:5], -1
                                        ; implicit-def: $sgpr10
	s_and_saveexec_b64 s[8:9], s[12:13]
; %bb.1678:                             ;   in Loop: Header=BB4_62 Depth=1
	s_mov_b32 s10, 0x7f800001
	s_xor_b64 s[4:5], exec, -1
; %bb.1679:                             ;   in Loop: Header=BB4_62 Depth=1
	s_or_b64 exec, exec, s[8:9]
	s_and_b64 s[4:5], s[4:5], exec
	s_or_saveexec_b64 s[6:7], s[6:7]
	v_mov_b32_e32 v114, s10
	s_xor_b64 exec, exec, s[6:7]
	s_cbranch_execz .LBB4_656
.LBB4_1680:                             ;   in Loop: Header=BB4_62 Depth=1
	v_cmp_ne_u16_sdwa s[8:9], v97, v62 src0_sel:BYTE_1 src1_sel:DWORD
	s_andn2_b64 s[4:5], s[4:5], exec
	s_and_b64 s[8:9], s[8:9], exec
	v_mov_b32_e32 v114, 0
	s_or_b64 s[4:5], s[4:5], s[8:9]
	s_or_b64 exec, exec, s[6:7]
	s_and_saveexec_b64 s[6:7], s[4:5]
	s_cbranch_execnz .LBB4_657
	s_branch .LBB4_658
.LBB4_1681:                             ;   in Loop: Header=BB4_62 Depth=1
	v_cmp_eq_u16_e32 vcc, s25, v4
	s_mov_b64 s[4:5], -1
                                        ; implicit-def: $sgpr10
	s_and_saveexec_b64 s[8:9], vcc
; %bb.1682:                             ;   in Loop: Header=BB4_62 Depth=1
	s_mov_b32 s10, 0x7f800001
	s_xor_b64 s[4:5], exec, -1
; %bb.1683:                             ;   in Loop: Header=BB4_62 Depth=1
	s_or_b64 exec, exec, s[8:9]
	s_and_b64 s[4:5], s[4:5], exec
                                        ; implicit-def: $vgpr4
	s_or_saveexec_b64 s[6:7], s[6:7]
	v_mov_b32_e32 v115, s10
	s_xor_b64 exec, exec, s[6:7]
	s_cbranch_execz .LBB4_660
.LBB4_1684:                             ;   in Loop: Header=BB4_62 Depth=1
	v_cmp_ne_u16_e32 vcc, 0, v4
	s_andn2_b64 s[4:5], s[4:5], exec
	s_and_b64 s[8:9], vcc, exec
	v_mov_b32_e32 v115, 0
	s_or_b64 s[4:5], s[4:5], s[8:9]
	s_or_b64 exec, exec, s[6:7]
	s_and_saveexec_b64 s[6:7], s[4:5]
	s_cbranch_execnz .LBB4_661
	s_branch .LBB4_662
.LBB4_1685:                             ;   in Loop: Header=BB4_62 Depth=1
	v_cmp_eq_u16_e32 vcc, s25, v4
	s_mov_b64 s[4:5], -1
                                        ; implicit-def: $sgpr10
	s_and_saveexec_b64 s[8:9], vcc
; %bb.1686:                             ;   in Loop: Header=BB4_62 Depth=1
	s_mov_b32 s10, 0x7f800001
	s_xor_b64 s[4:5], exec, -1
; %bb.1687:                             ;   in Loop: Header=BB4_62 Depth=1
	s_or_b64 exec, exec, s[8:9]
	s_and_b64 s[4:5], s[4:5], exec
	s_or_saveexec_b64 s[6:7], s[6:7]
	v_mov_b32_e32 v63, s10
	s_xor_b64 exec, exec, s[6:7]
	s_cbranch_execz .LBB4_664
.LBB4_1688:                             ;   in Loop: Header=BB4_62 Depth=1
	v_cmp_ne_u16_e32 vcc, 0, v4
	s_andn2_b64 s[4:5], s[4:5], exec
	s_and_b64 s[8:9], vcc, exec
	v_mov_b32_e32 v63, 0
	s_or_b64 s[4:5], s[4:5], s[8:9]
	s_or_b64 exec, exec, s[6:7]
	s_and_saveexec_b64 s[6:7], s[4:5]
	s_cbranch_execnz .LBB4_665
	s_branch .LBB4_666
.LBB4_1689:                             ;   in Loop: Header=BB4_62 Depth=1
	v_cmp_eq_u16_sdwa s[12:13], v98, s25 src0_sel:BYTE_0 src1_sel:DWORD
	s_mov_b64 s[4:5], -1
                                        ; implicit-def: $sgpr10
	s_and_saveexec_b64 s[8:9], s[12:13]
; %bb.1690:                             ;   in Loop: Header=BB4_62 Depth=1
	s_mov_b32 s10, 0x7f800001
	s_xor_b64 s[4:5], exec, -1
; %bb.1691:                             ;   in Loop: Header=BB4_62 Depth=1
	s_or_b64 exec, exec, s[8:9]
	s_and_b64 s[4:5], s[4:5], exec
	s_or_saveexec_b64 s[6:7], s[6:7]
	v_mov_b32_e32 v97, s10
	s_xor_b64 exec, exec, s[6:7]
	s_cbranch_execz .LBB4_668
.LBB4_1692:                             ;   in Loop: Header=BB4_62 Depth=1
	v_cmp_ne_u16_sdwa s[8:9], v98, v62 src0_sel:BYTE_0 src1_sel:DWORD
	s_andn2_b64 s[4:5], s[4:5], exec
	s_and_b64 s[8:9], s[8:9], exec
	v_mov_b32_e32 v97, 0
	s_or_b64 s[4:5], s[4:5], s[8:9]
	s_or_b64 exec, exec, s[6:7]
	s_and_saveexec_b64 s[6:7], s[4:5]
	s_cbranch_execnz .LBB4_669
	s_branch .LBB4_670
.LBB4_1693:                             ;   in Loop: Header=BB4_62 Depth=1
	v_cmp_eq_u16_sdwa s[12:13], v98, s25 src0_sel:BYTE_1 src1_sel:DWORD
	s_mov_b64 s[4:5], -1
                                        ; implicit-def: $sgpr10
	s_and_saveexec_b64 s[8:9], s[12:13]
; %bb.1694:                             ;   in Loop: Header=BB4_62 Depth=1
	s_mov_b32 s10, 0x7f800001
	s_xor_b64 s[4:5], exec, -1
; %bb.1695:                             ;   in Loop: Header=BB4_62 Depth=1
	s_or_b64 exec, exec, s[8:9]
	s_and_b64 s[4:5], s[4:5], exec
	s_or_saveexec_b64 s[6:7], s[6:7]
	v_mov_b32_e32 v74, s10
	s_xor_b64 exec, exec, s[6:7]
	s_cbranch_execz .LBB4_672
.LBB4_1696:                             ;   in Loop: Header=BB4_62 Depth=1
	v_cmp_ne_u16_sdwa s[8:9], v98, v62 src0_sel:BYTE_1 src1_sel:DWORD
	s_andn2_b64 s[4:5], s[4:5], exec
	s_and_b64 s[8:9], s[8:9], exec
	v_mov_b32_e32 v74, 0
	s_or_b64 s[4:5], s[4:5], s[8:9]
	s_or_b64 exec, exec, s[6:7]
	s_and_saveexec_b64 s[6:7], s[4:5]
	s_cbranch_execnz .LBB4_673
	s_branch .LBB4_674
.LBB4_1697:                             ;   in Loop: Header=BB4_62 Depth=1
	v_cmp_eq_u16_e32 vcc, s25, v4
	s_mov_b64 s[4:5], -1
                                        ; implicit-def: $sgpr10
	s_and_saveexec_b64 s[8:9], vcc
; %bb.1698:                             ;   in Loop: Header=BB4_62 Depth=1
	s_mov_b32 s10, 0x7f800001
	s_xor_b64 s[4:5], exec, -1
; %bb.1699:                             ;   in Loop: Header=BB4_62 Depth=1
	s_or_b64 exec, exec, s[8:9]
	s_and_b64 s[4:5], s[4:5], exec
                                        ; implicit-def: $vgpr4
	s_or_saveexec_b64 s[6:7], s[6:7]
	v_mov_b32_e32 v75, s10
	s_xor_b64 exec, exec, s[6:7]
	s_cbranch_execz .LBB4_676
.LBB4_1700:                             ;   in Loop: Header=BB4_62 Depth=1
	v_cmp_ne_u16_e32 vcc, 0, v4
	s_andn2_b64 s[4:5], s[4:5], exec
	s_and_b64 s[8:9], vcc, exec
	v_mov_b32_e32 v75, 0
	s_or_b64 s[4:5], s[4:5], s[8:9]
	s_or_b64 exec, exec, s[6:7]
	s_and_saveexec_b64 s[6:7], s[4:5]
	s_cbranch_execnz .LBB4_677
	s_branch .LBB4_678
.LBB4_1701:                             ;   in Loop: Header=BB4_62 Depth=1
	v_cmp_eq_u16_e32 vcc, s25, v5
	s_mov_b64 s[4:5], -1
                                        ; implicit-def: $sgpr10
	s_and_saveexec_b64 s[8:9], vcc
; %bb.1702:                             ;   in Loop: Header=BB4_62 Depth=1
	s_mov_b32 s10, 0x7f800001
	s_xor_b64 s[4:5], exec, -1
; %bb.1703:                             ;   in Loop: Header=BB4_62 Depth=1
	s_or_b64 exec, exec, s[8:9]
	s_and_b64 s[4:5], s[4:5], exec
	s_or_saveexec_b64 s[6:7], s[6:7]
	v_mov_b32_e32 v4, s10
	s_xor_b64 exec, exec, s[6:7]
	s_cbranch_execz .LBB4_680
.LBB4_1704:                             ;   in Loop: Header=BB4_62 Depth=1
	v_cmp_ne_u16_e32 vcc, 0, v5
	s_andn2_b64 s[4:5], s[4:5], exec
	s_and_b64 s[8:9], vcc, exec
	v_mov_b32_e32 v4, 0
	s_or_b64 s[4:5], s[4:5], s[8:9]
	s_or_b64 exec, exec, s[6:7]
	s_and_saveexec_b64 s[6:7], s[4:5]
	s_cbranch_execnz .LBB4_681
	s_branch .LBB4_682
.LBB4_1705:                             ;   in Loop: Header=BB4_62 Depth=1
	v_cmp_eq_u16_sdwa s[12:13], v99, s25 src0_sel:BYTE_0 src1_sel:DWORD
	s_mov_b64 s[4:5], -1
                                        ; implicit-def: $sgpr10
	s_and_saveexec_b64 s[8:9], s[12:13]
; %bb.1706:                             ;   in Loop: Header=BB4_62 Depth=1
	s_mov_b32 s10, 0x7f800001
	s_xor_b64 s[4:5], exec, -1
; %bb.1707:                             ;   in Loop: Header=BB4_62 Depth=1
	s_or_b64 exec, exec, s[8:9]
	s_and_b64 s[4:5], s[4:5], exec
	s_or_saveexec_b64 s[6:7], s[6:7]
	v_mov_b32_e32 v5, s10
	s_xor_b64 exec, exec, s[6:7]
	s_cbranch_execz .LBB4_684
.LBB4_1708:                             ;   in Loop: Header=BB4_62 Depth=1
	v_cmp_ne_u16_sdwa s[8:9], v99, v62 src0_sel:BYTE_0 src1_sel:DWORD
	s_andn2_b64 s[4:5], s[4:5], exec
	s_and_b64 s[8:9], s[8:9], exec
	v_mov_b32_e32 v5, 0
	s_or_b64 s[4:5], s[4:5], s[8:9]
	s_or_b64 exec, exec, s[6:7]
	s_and_saveexec_b64 s[6:7], s[4:5]
	s_cbranch_execnz .LBB4_685
	s_branch .LBB4_686
.LBB4_1709:                             ;   in Loop: Header=BB4_62 Depth=1
	v_cmp_eq_u16_sdwa s[12:13], v99, s25 src0_sel:BYTE_1 src1_sel:DWORD
	s_mov_b64 s[4:5], -1
                                        ; implicit-def: $sgpr10
	s_and_saveexec_b64 s[8:9], s[12:13]
; %bb.1710:                             ;   in Loop: Header=BB4_62 Depth=1
	s_mov_b32 s10, 0x7f800001
	s_xor_b64 s[4:5], exec, -1
; %bb.1711:                             ;   in Loop: Header=BB4_62 Depth=1
	s_or_b64 exec, exec, s[8:9]
	s_and_b64 s[4:5], s[4:5], exec
	s_or_saveexec_b64 s[6:7], s[6:7]
	v_mov_b32_e32 v6, s10
	s_xor_b64 exec, exec, s[6:7]
	s_cbranch_execz .LBB4_688
.LBB4_1712:                             ;   in Loop: Header=BB4_62 Depth=1
	v_cmp_ne_u16_sdwa s[8:9], v99, v62 src0_sel:BYTE_1 src1_sel:DWORD
	s_andn2_b64 s[4:5], s[4:5], exec
	s_and_b64 s[8:9], s[8:9], exec
	v_mov_b32_e32 v6, 0
	s_or_b64 s[4:5], s[4:5], s[8:9]
	s_or_b64 exec, exec, s[6:7]
	s_and_saveexec_b64 s[6:7], s[4:5]
	s_cbranch_execnz .LBB4_689
	s_branch .LBB4_690
.LBB4_1713:                             ;   in Loop: Header=BB4_62 Depth=1
	v_cmp_eq_u16_e32 vcc, s25, v8
	s_mov_b64 s[4:5], -1
                                        ; implicit-def: $sgpr10
	s_and_saveexec_b64 s[8:9], vcc
; %bb.1714:                             ;   in Loop: Header=BB4_62 Depth=1
	s_mov_b32 s10, 0x7f800001
	s_xor_b64 s[4:5], exec, -1
; %bb.1715:                             ;   in Loop: Header=BB4_62 Depth=1
	s_or_b64 exec, exec, s[8:9]
	s_and_b64 s[4:5], s[4:5], exec
                                        ; implicit-def: $vgpr8
	s_or_saveexec_b64 s[6:7], s[6:7]
	v_mov_b32_e32 v7, s10
	s_xor_b64 exec, exec, s[6:7]
	s_cbranch_execz .LBB4_692
.LBB4_1716:                             ;   in Loop: Header=BB4_62 Depth=1
	v_cmp_ne_u16_e32 vcc, 0, v8
	s_andn2_b64 s[4:5], s[4:5], exec
	s_and_b64 s[8:9], vcc, exec
	v_mov_b32_e32 v7, 0
	s_or_b64 s[4:5], s[4:5], s[8:9]
	s_or_b64 exec, exec, s[6:7]
	s_and_saveexec_b64 s[6:7], s[4:5]
	s_cbranch_execnz .LBB4_693
	s_branch .LBB4_694
.LBB4_1717:                             ;   in Loop: Header=BB4_62 Depth=1
	v_cmp_eq_u16_e32 vcc, s25, v98
	s_mov_b64 s[4:5], -1
                                        ; implicit-def: $sgpr10
	s_and_saveexec_b64 s[8:9], vcc
; %bb.1718:                             ;   in Loop: Header=BB4_62 Depth=1
	s_mov_b32 s10, 0x7f800001
	s_xor_b64 s[4:5], exec, -1
; %bb.1719:                             ;   in Loop: Header=BB4_62 Depth=1
	s_or_b64 exec, exec, s[8:9]
	s_and_b64 s[4:5], s[4:5], exec
	s_or_saveexec_b64 s[6:7], s[6:7]
	v_mov_b32_e32 v76, s10
	s_xor_b64 exec, exec, s[6:7]
	s_cbranch_execz .LBB4_696
.LBB4_1720:                             ;   in Loop: Header=BB4_62 Depth=1
	v_cmp_ne_u16_e32 vcc, 0, v98
	s_andn2_b64 s[4:5], s[4:5], exec
	s_and_b64 s[8:9], vcc, exec
	v_mov_b32_e32 v76, 0
	s_or_b64 s[4:5], s[4:5], s[8:9]
	s_or_b64 exec, exec, s[6:7]
	s_and_saveexec_b64 s[6:7], s[4:5]
	s_cbranch_execnz .LBB4_697
	s_branch .LBB4_698
.LBB4_1721:                             ;   in Loop: Header=BB4_62 Depth=1
	v_cmp_eq_u16_sdwa s[12:13], v96, s25 src0_sel:BYTE_0 src1_sel:DWORD
	s_mov_b64 s[4:5], -1
                                        ; implicit-def: $sgpr10
	s_and_saveexec_b64 s[8:9], s[12:13]
; %bb.1722:                             ;   in Loop: Header=BB4_62 Depth=1
	s_mov_b32 s10, 0x7f800001
	s_xor_b64 s[4:5], exec, -1
; %bb.1723:                             ;   in Loop: Header=BB4_62 Depth=1
	s_or_b64 exec, exec, s[8:9]
	s_and_b64 s[4:5], s[4:5], exec
	s_or_saveexec_b64 s[6:7], s[6:7]
	v_mov_b32_e32 v0, s10
	s_xor_b64 exec, exec, s[6:7]
	s_cbranch_execz .LBB4_700
.LBB4_1724:                             ;   in Loop: Header=BB4_62 Depth=1
	v_cmp_ne_u16_sdwa s[8:9], v96, v62 src0_sel:BYTE_0 src1_sel:DWORD
	s_andn2_b64 s[4:5], s[4:5], exec
	s_and_b64 s[8:9], s[8:9], exec
	v_mov_b32_e32 v0, 0
	s_or_b64 s[4:5], s[4:5], s[8:9]
	s_or_b64 exec, exec, s[6:7]
	s_and_saveexec_b64 s[6:7], s[4:5]
	s_cbranch_execnz .LBB4_701
	s_branch .LBB4_702
.LBB4_1725:                             ;   in Loop: Header=BB4_62 Depth=1
	v_cmp_eq_u16_sdwa s[12:13], v96, s25 src0_sel:BYTE_1 src1_sel:DWORD
	s_mov_b64 s[4:5], -1
                                        ; implicit-def: $sgpr10
	s_and_saveexec_b64 s[8:9], s[12:13]
; %bb.1726:                             ;   in Loop: Header=BB4_62 Depth=1
	s_mov_b32 s10, 0x7f800001
	s_xor_b64 s[4:5], exec, -1
; %bb.1727:                             ;   in Loop: Header=BB4_62 Depth=1
	s_or_b64 exec, exec, s[8:9]
	s_and_b64 s[4:5], s[4:5], exec
	s_or_saveexec_b64 s[6:7], s[6:7]
	v_mov_b32_e32 v1, s10
	s_xor_b64 exec, exec, s[6:7]
	s_cbranch_execz .LBB4_704
.LBB4_1728:                             ;   in Loop: Header=BB4_62 Depth=1
	v_cmp_ne_u16_sdwa s[8:9], v96, v62 src0_sel:BYTE_1 src1_sel:DWORD
	s_andn2_b64 s[4:5], s[4:5], exec
	s_and_b64 s[8:9], s[8:9], exec
	v_mov_b32_e32 v1, 0
	s_or_b64 s[4:5], s[4:5], s[8:9]
	s_or_b64 exec, exec, s[6:7]
	s_and_saveexec_b64 s[6:7], s[4:5]
	s_cbranch_execnz .LBB4_705
	s_branch .LBB4_706
.LBB4_1729:                             ;   in Loop: Header=BB4_62 Depth=1
	v_cmp_eq_u16_e32 vcc, s25, v4
	s_mov_b64 s[4:5], -1
                                        ; implicit-def: $sgpr10
	s_and_saveexec_b64 s[8:9], vcc
; %bb.1730:                             ;   in Loop: Header=BB4_62 Depth=1
	s_mov_b32 s10, 0x7f800001
	s_xor_b64 s[4:5], exec, -1
; %bb.1731:                             ;   in Loop: Header=BB4_62 Depth=1
	s_or_b64 exec, exec, s[8:9]
	s_and_b64 s[4:5], s[4:5], exec
                                        ; implicit-def: $vgpr4
	s_or_saveexec_b64 s[6:7], s[6:7]
	v_mov_b32_e32 v114, s10
	s_xor_b64 exec, exec, s[6:7]
	s_cbranch_execz .LBB4_708
.LBB4_1732:                             ;   in Loop: Header=BB4_62 Depth=1
	v_cmp_ne_u16_e32 vcc, 0, v4
	s_andn2_b64 s[4:5], s[4:5], exec
	s_and_b64 s[8:9], vcc, exec
	v_mov_b32_e32 v114, 0
	s_or_b64 s[4:5], s[4:5], s[8:9]
	s_or_b64 exec, exec, s[6:7]
	s_and_saveexec_b64 s[6:7], s[4:5]
	s_cbranch_execnz .LBB4_709
	s_branch .LBB4_710
.LBB4_1733:                             ;   in Loop: Header=BB4_62 Depth=1
	v_cmp_eq_u16_e32 vcc, s25, v4
	s_mov_b64 s[4:5], -1
                                        ; implicit-def: $sgpr10
	s_and_saveexec_b64 s[8:9], vcc
; %bb.1734:                             ;   in Loop: Header=BB4_62 Depth=1
	s_mov_b32 s10, 0x7f800001
	s_xor_b64 s[4:5], exec, -1
; %bb.1735:                             ;   in Loop: Header=BB4_62 Depth=1
	s_or_b64 exec, exec, s[8:9]
	s_and_b64 s[4:5], s[4:5], exec
	s_or_saveexec_b64 s[6:7], s[6:7]
	v_mov_b32_e32 v115, s10
	s_xor_b64 exec, exec, s[6:7]
	s_cbranch_execz .LBB4_712
.LBB4_1736:                             ;   in Loop: Header=BB4_62 Depth=1
	v_cmp_ne_u16_e32 vcc, 0, v4
	s_andn2_b64 s[4:5], s[4:5], exec
	s_and_b64 s[8:9], vcc, exec
	v_mov_b32_e32 v115, 0
	s_or_b64 s[4:5], s[4:5], s[8:9]
	s_or_b64 exec, exec, s[6:7]
	s_and_saveexec_b64 s[6:7], s[4:5]
	s_cbranch_execnz .LBB4_713
	s_branch .LBB4_714
.LBB4_1737:                             ;   in Loop: Header=BB4_62 Depth=1
	v_cmp_eq_u16_sdwa s[12:13], v97, s25 src0_sel:BYTE_0 src1_sel:DWORD
	s_mov_b64 s[4:5], -1
                                        ; implicit-def: $sgpr10
	s_and_saveexec_b64 s[8:9], s[12:13]
; %bb.1738:                             ;   in Loop: Header=BB4_62 Depth=1
	s_mov_b32 s10, 0x7f800001
	s_xor_b64 s[4:5], exec, -1
; %bb.1739:                             ;   in Loop: Header=BB4_62 Depth=1
	s_or_b64 exec, exec, s[8:9]
	s_and_b64 s[4:5], s[4:5], exec
	s_or_saveexec_b64 s[6:7], s[6:7]
	v_mov_b32_e32 v96, s10
	s_xor_b64 exec, exec, s[6:7]
	s_cbranch_execz .LBB4_716
.LBB4_1740:                             ;   in Loop: Header=BB4_62 Depth=1
	v_cmp_ne_u16_sdwa s[8:9], v97, v62 src0_sel:BYTE_0 src1_sel:DWORD
	s_andn2_b64 s[4:5], s[4:5], exec
	s_and_b64 s[8:9], s[8:9], exec
	v_mov_b32_e32 v96, 0
	s_or_b64 s[4:5], s[4:5], s[8:9]
	s_or_b64 exec, exec, s[6:7]
	s_and_saveexec_b64 s[6:7], s[4:5]
	s_cbranch_execnz .LBB4_717
	s_branch .LBB4_718
.LBB4_1741:                             ;   in Loop: Header=BB4_62 Depth=1
	v_cmp_eq_u16_sdwa s[12:13], v97, s25 src0_sel:BYTE_1 src1_sel:DWORD
	s_mov_b64 s[4:5], -1
                                        ; implicit-def: $sgpr10
	s_and_saveexec_b64 s[8:9], s[12:13]
; %bb.1742:                             ;   in Loop: Header=BB4_62 Depth=1
	s_mov_b32 s10, 0x7f800001
	s_xor_b64 s[4:5], exec, -1
; %bb.1743:                             ;   in Loop: Header=BB4_62 Depth=1
	s_or_b64 exec, exec, s[8:9]
	s_and_b64 s[4:5], s[4:5], exec
	s_or_saveexec_b64 s[6:7], s[6:7]
	v_mov_b32_e32 v91, s10
	s_xor_b64 exec, exec, s[6:7]
	s_cbranch_execz .LBB4_720
.LBB4_1744:                             ;   in Loop: Header=BB4_62 Depth=1
	v_cmp_ne_u16_sdwa s[8:9], v97, v62 src0_sel:BYTE_1 src1_sel:DWORD
	s_andn2_b64 s[4:5], s[4:5], exec
	s_and_b64 s[8:9], s[8:9], exec
	v_mov_b32_e32 v91, 0
	s_or_b64 s[4:5], s[4:5], s[8:9]
	s_or_b64 exec, exec, s[6:7]
	s_and_saveexec_b64 s[6:7], s[4:5]
	s_cbranch_execnz .LBB4_721
	s_branch .LBB4_722
.LBB4_1745:                             ;   in Loop: Header=BB4_62 Depth=1
	v_cmp_eq_u16_e32 vcc, s25, v4
	s_mov_b64 s[4:5], -1
                                        ; implicit-def: $sgpr10
	s_and_saveexec_b64 s[8:9], vcc
; %bb.1746:                             ;   in Loop: Header=BB4_62 Depth=1
	s_mov_b32 s10, 0x7f800001
	s_xor_b64 s[4:5], exec, -1
; %bb.1747:                             ;   in Loop: Header=BB4_62 Depth=1
	s_or_b64 exec, exec, s[8:9]
	s_and_b64 s[4:5], s[4:5], exec
                                        ; implicit-def: $vgpr4
	s_or_saveexec_b64 s[6:7], s[6:7]
	v_mov_b32_e32 v92, s10
	s_xor_b64 exec, exec, s[6:7]
	s_cbranch_execz .LBB4_724
.LBB4_1748:                             ;   in Loop: Header=BB4_62 Depth=1
	v_cmp_ne_u16_e32 vcc, 0, v4
	s_andn2_b64 s[4:5], s[4:5], exec
	s_and_b64 s[8:9], vcc, exec
	v_mov_b32_e32 v92, 0
	s_or_b64 s[4:5], s[4:5], s[8:9]
	s_or_b64 exec, exec, s[6:7]
	s_and_saveexec_b64 s[6:7], s[4:5]
	s_cbranch_execnz .LBB4_725
	s_branch .LBB4_726
.LBB4_1749:                             ;   in Loop: Header=BB4_62 Depth=1
	v_cmp_eq_u16_e32 vcc, s25, v4
	s_mov_b64 s[4:5], -1
                                        ; implicit-def: $sgpr10
	s_and_saveexec_b64 s[8:9], vcc
; %bb.1750:                             ;   in Loop: Header=BB4_62 Depth=1
	s_mov_b32 s10, 0x7f800001
	s_xor_b64 s[4:5], exec, -1
; %bb.1751:                             ;   in Loop: Header=BB4_62 Depth=1
	s_or_b64 exec, exec, s[8:9]
	s_and_b64 s[4:5], s[4:5], exec
	s_or_saveexec_b64 s[6:7], s[6:7]
	v_mov_b32_e32 v93, s10
	s_xor_b64 exec, exec, s[6:7]
	s_cbranch_execz .LBB4_728
.LBB4_1752:                             ;   in Loop: Header=BB4_62 Depth=1
	v_cmp_ne_u16_e32 vcc, 0, v4
	s_andn2_b64 s[4:5], s[4:5], exec
	s_and_b64 s[8:9], vcc, exec
	v_mov_b32_e32 v93, 0
	s_or_b64 s[4:5], s[4:5], s[8:9]
	s_or_b64 exec, exec, s[6:7]
	s_and_saveexec_b64 s[6:7], s[4:5]
	s_cbranch_execnz .LBB4_729
	s_branch .LBB4_730
.LBB4_1753:                             ;   in Loop: Header=BB4_62 Depth=1
	v_cmp_eq_u16_sdwa s[12:13], v98, s25 src0_sel:BYTE_0 src1_sel:DWORD
	s_mov_b64 s[4:5], -1
                                        ; implicit-def: $sgpr10
	s_and_saveexec_b64 s[8:9], s[12:13]
; %bb.1754:                             ;   in Loop: Header=BB4_62 Depth=1
	s_mov_b32 s10, 0x7f800001
	s_xor_b64 s[4:5], exec, -1
; %bb.1755:                             ;   in Loop: Header=BB4_62 Depth=1
	s_or_b64 exec, exec, s[8:9]
	s_and_b64 s[4:5], s[4:5], exec
	s_or_saveexec_b64 s[6:7], s[6:7]
	v_mov_b32_e32 v97, s10
	s_xor_b64 exec, exec, s[6:7]
	s_cbranch_execz .LBB4_732
.LBB4_1756:                             ;   in Loop: Header=BB4_62 Depth=1
	v_cmp_ne_u16_sdwa s[8:9], v98, v62 src0_sel:BYTE_0 src1_sel:DWORD
	s_andn2_b64 s[4:5], s[4:5], exec
	s_and_b64 s[8:9], s[8:9], exec
	v_mov_b32_e32 v97, 0
	s_or_b64 s[4:5], s[4:5], s[8:9]
	s_or_b64 exec, exec, s[6:7]
	s_and_saveexec_b64 s[6:7], s[4:5]
	s_cbranch_execnz .LBB4_733
	s_branch .LBB4_734
.LBB4_1757:                             ;   in Loop: Header=BB4_62 Depth=1
	v_cmp_eq_u16_sdwa s[12:13], v98, s25 src0_sel:BYTE_1 src1_sel:DWORD
	s_mov_b64 s[4:5], -1
                                        ; implicit-def: $sgpr10
	s_and_saveexec_b64 s[8:9], s[12:13]
; %bb.1758:                             ;   in Loop: Header=BB4_62 Depth=1
	s_mov_b32 s10, 0x7f800001
	s_xor_b64 s[4:5], exec, -1
; %bb.1759:                             ;   in Loop: Header=BB4_62 Depth=1
	s_or_b64 exec, exec, s[8:9]
	s_and_b64 s[4:5], s[4:5], exec
	s_or_saveexec_b64 s[6:7], s[6:7]
	v_mov_b32_e32 v94, s10
	s_xor_b64 exec, exec, s[6:7]
	s_cbranch_execz .LBB4_736
.LBB4_1760:                             ;   in Loop: Header=BB4_62 Depth=1
	v_cmp_ne_u16_sdwa s[8:9], v98, v62 src0_sel:BYTE_1 src1_sel:DWORD
	s_andn2_b64 s[4:5], s[4:5], exec
	s_and_b64 s[8:9], s[8:9], exec
	v_mov_b32_e32 v94, 0
	s_or_b64 s[4:5], s[4:5], s[8:9]
	s_or_b64 exec, exec, s[6:7]
	s_and_saveexec_b64 s[6:7], s[4:5]
	s_cbranch_execnz .LBB4_737
	s_branch .LBB4_738
.LBB4_1761:                             ;   in Loop: Header=BB4_62 Depth=1
	v_cmp_eq_u16_e32 vcc, s25, v4
	s_mov_b64 s[4:5], -1
                                        ; implicit-def: $sgpr10
	s_and_saveexec_b64 s[8:9], vcc
; %bb.1762:                             ;   in Loop: Header=BB4_62 Depth=1
	s_mov_b32 s10, 0x7f800001
	s_xor_b64 s[4:5], exec, -1
; %bb.1763:                             ;   in Loop: Header=BB4_62 Depth=1
	s_or_b64 exec, exec, s[8:9]
	s_and_b64 s[4:5], s[4:5], exec
                                        ; implicit-def: $vgpr4
	s_or_saveexec_b64 s[6:7], s[6:7]
	v_mov_b32_e32 v95, s10
	s_xor_b64 exec, exec, s[6:7]
	s_cbranch_execz .LBB4_740
.LBB4_1764:                             ;   in Loop: Header=BB4_62 Depth=1
	v_cmp_ne_u16_e32 vcc, 0, v4
	s_andn2_b64 s[4:5], s[4:5], exec
	s_and_b64 s[8:9], vcc, exec
	v_mov_b32_e32 v95, 0
	s_or_b64 s[4:5], s[4:5], s[8:9]
	s_or_b64 exec, exec, s[6:7]
	s_and_saveexec_b64 s[6:7], s[4:5]
	s_cbranch_execnz .LBB4_741
	s_branch .LBB4_742
.LBB4_1765:                             ;   in Loop: Header=BB4_62 Depth=1
	v_cmp_eq_u16_e32 vcc, s25, v5
	s_mov_b64 s[4:5], -1
                                        ; implicit-def: $sgpr10
	s_and_saveexec_b64 s[8:9], vcc
; %bb.1766:                             ;   in Loop: Header=BB4_62 Depth=1
	s_mov_b32 s10, 0x7f800001
	s_xor_b64 s[4:5], exec, -1
; %bb.1767:                             ;   in Loop: Header=BB4_62 Depth=1
	s_or_b64 exec, exec, s[8:9]
	s_and_b64 s[4:5], s[4:5], exec
	s_or_saveexec_b64 s[6:7], s[6:7]
	v_mov_b32_e32 v4, s10
	s_xor_b64 exec, exec, s[6:7]
	s_cbranch_execz .LBB4_744
.LBB4_1768:                             ;   in Loop: Header=BB4_62 Depth=1
	v_cmp_ne_u16_e32 vcc, 0, v5
	s_andn2_b64 s[4:5], s[4:5], exec
	s_and_b64 s[8:9], vcc, exec
	v_mov_b32_e32 v4, 0
	s_or_b64 s[4:5], s[4:5], s[8:9]
	s_or_b64 exec, exec, s[6:7]
	s_and_saveexec_b64 s[6:7], s[4:5]
	s_cbranch_execnz .LBB4_745
	s_branch .LBB4_746
.LBB4_1769:                             ;   in Loop: Header=BB4_62 Depth=1
	v_cmp_eq_u16_sdwa s[12:13], v99, s25 src0_sel:BYTE_0 src1_sel:DWORD
	s_mov_b64 s[4:5], -1
                                        ; implicit-def: $sgpr10
	s_and_saveexec_b64 s[8:9], s[12:13]
; %bb.1770:                             ;   in Loop: Header=BB4_62 Depth=1
	s_mov_b32 s10, 0x7f800001
	s_xor_b64 s[4:5], exec, -1
; %bb.1771:                             ;   in Loop: Header=BB4_62 Depth=1
	s_or_b64 exec, exec, s[8:9]
	s_and_b64 s[4:5], s[4:5], exec
	s_or_saveexec_b64 s[6:7], s[6:7]
	v_mov_b32_e32 v5, s10
	s_xor_b64 exec, exec, s[6:7]
	s_cbranch_execz .LBB4_748
.LBB4_1772:                             ;   in Loop: Header=BB4_62 Depth=1
	v_cmp_ne_u16_sdwa s[8:9], v99, v62 src0_sel:BYTE_0 src1_sel:DWORD
	s_andn2_b64 s[4:5], s[4:5], exec
	s_and_b64 s[8:9], s[8:9], exec
	v_mov_b32_e32 v5, 0
	s_or_b64 s[4:5], s[4:5], s[8:9]
	s_or_b64 exec, exec, s[6:7]
	s_and_saveexec_b64 s[6:7], s[4:5]
	s_cbranch_execnz .LBB4_749
	s_branch .LBB4_750
.LBB4_1773:                             ;   in Loop: Header=BB4_62 Depth=1
	v_cmp_eq_u16_sdwa s[12:13], v99, s25 src0_sel:BYTE_1 src1_sel:DWORD
	s_mov_b64 s[4:5], -1
                                        ; implicit-def: $sgpr10
	s_and_saveexec_b64 s[8:9], s[12:13]
; %bb.1774:                             ;   in Loop: Header=BB4_62 Depth=1
	s_mov_b32 s10, 0x7f800001
	s_xor_b64 s[4:5], exec, -1
; %bb.1775:                             ;   in Loop: Header=BB4_62 Depth=1
	s_or_b64 exec, exec, s[8:9]
	s_and_b64 s[4:5], s[4:5], exec
	s_or_saveexec_b64 s[6:7], s[6:7]
	v_mov_b32_e32 v6, s10
	s_xor_b64 exec, exec, s[6:7]
	s_cbranch_execz .LBB4_752
.LBB4_1776:                             ;   in Loop: Header=BB4_62 Depth=1
	v_cmp_ne_u16_sdwa s[8:9], v99, v62 src0_sel:BYTE_1 src1_sel:DWORD
	s_andn2_b64 s[4:5], s[4:5], exec
	s_and_b64 s[8:9], s[8:9], exec
	v_mov_b32_e32 v6, 0
	s_or_b64 s[4:5], s[4:5], s[8:9]
	s_or_b64 exec, exec, s[6:7]
	s_and_saveexec_b64 s[6:7], s[4:5]
	s_cbranch_execnz .LBB4_753
	s_branch .LBB4_754
.LBB4_1777:                             ;   in Loop: Header=BB4_62 Depth=1
	v_cmp_eq_u16_e32 vcc, s25, v8
	s_mov_b64 s[4:5], -1
                                        ; implicit-def: $sgpr10
	s_and_saveexec_b64 s[8:9], vcc
; %bb.1778:                             ;   in Loop: Header=BB4_62 Depth=1
	s_mov_b32 s10, 0x7f800001
	s_xor_b64 s[4:5], exec, -1
; %bb.1779:                             ;   in Loop: Header=BB4_62 Depth=1
	s_or_b64 exec, exec, s[8:9]
	s_and_b64 s[4:5], s[4:5], exec
                                        ; implicit-def: $vgpr8
	s_or_saveexec_b64 s[6:7], s[6:7]
	v_mov_b32_e32 v7, s10
	s_xor_b64 exec, exec, s[6:7]
	s_cbranch_execz .LBB4_756
.LBB4_1780:                             ;   in Loop: Header=BB4_62 Depth=1
	v_cmp_ne_u16_e32 vcc, 0, v8
	s_andn2_b64 s[4:5], s[4:5], exec
	s_and_b64 s[8:9], vcc, exec
	v_mov_b32_e32 v7, 0
	s_or_b64 s[4:5], s[4:5], s[8:9]
	s_or_b64 exec, exec, s[6:7]
	s_and_saveexec_b64 s[6:7], s[4:5]
	s_cbranch_execnz .LBB4_757
	s_branch .LBB4_758
.LBB4_1781:                             ;   in Loop: Header=BB4_62 Depth=1
	v_cmp_eq_u16_e32 vcc, s25, v98
	s_mov_b64 s[4:5], -1
                                        ; implicit-def: $sgpr10
	s_and_saveexec_b64 s[8:9], vcc
; %bb.1782:                             ;   in Loop: Header=BB4_62 Depth=1
	s_mov_b32 s10, 0x7f800001
	s_xor_b64 s[4:5], exec, -1
; %bb.1783:                             ;   in Loop: Header=BB4_62 Depth=1
	s_or_b64 exec, exec, s[8:9]
	s_and_b64 s[4:5], s[4:5], exec
	s_or_saveexec_b64 s[6:7], s[6:7]
	v_mov_b32_e32 v104, s10
	s_xor_b64 exec, exec, s[6:7]
	s_cbranch_execz .LBB4_760
.LBB4_1784:                             ;   in Loop: Header=BB4_62 Depth=1
	v_cmp_ne_u16_e32 vcc, 0, v98
	s_andn2_b64 s[4:5], s[4:5], exec
	s_and_b64 s[8:9], vcc, exec
	v_mov_b32_e32 v104, 0
	s_or_b64 s[4:5], s[4:5], s[8:9]
	s_or_b64 exec, exec, s[6:7]
	s_and_saveexec_b64 s[6:7], s[4:5]
	s_cbranch_execnz .LBB4_761
	s_branch .LBB4_762
.LBB4_1785:                             ;   in Loop: Header=BB4_62 Depth=1
	v_cmp_eq_u16_sdwa s[12:13], v96, s25 src0_sel:BYTE_0 src1_sel:DWORD
	s_mov_b64 s[4:5], -1
                                        ; implicit-def: $sgpr10
	s_and_saveexec_b64 s[8:9], s[12:13]
; %bb.1786:                             ;   in Loop: Header=BB4_62 Depth=1
	s_mov_b32 s10, 0x7f800001
	s_xor_b64 s[4:5], exec, -1
; %bb.1787:                             ;   in Loop: Header=BB4_62 Depth=1
	s_or_b64 exec, exec, s[8:9]
	s_and_b64 s[4:5], s[4:5], exec
	s_or_saveexec_b64 s[6:7], s[6:7]
	v_mov_b32_e32 v0, s10
	s_xor_b64 exec, exec, s[6:7]
	s_cbranch_execz .LBB4_764
.LBB4_1788:                             ;   in Loop: Header=BB4_62 Depth=1
	v_cmp_ne_u16_sdwa s[8:9], v96, v62 src0_sel:BYTE_0 src1_sel:DWORD
	s_andn2_b64 s[4:5], s[4:5], exec
	s_and_b64 s[8:9], s[8:9], exec
	v_mov_b32_e32 v0, 0
	s_or_b64 s[4:5], s[4:5], s[8:9]
	s_or_b64 exec, exec, s[6:7]
	s_and_saveexec_b64 s[6:7], s[4:5]
	s_cbranch_execnz .LBB4_765
	s_branch .LBB4_766
.LBB4_1789:                             ;   in Loop: Header=BB4_62 Depth=1
	v_cmp_eq_u16_sdwa s[12:13], v96, s25 src0_sel:BYTE_1 src1_sel:DWORD
	s_mov_b64 s[4:5], -1
                                        ; implicit-def: $sgpr10
	s_and_saveexec_b64 s[8:9], s[12:13]
; %bb.1790:                             ;   in Loop: Header=BB4_62 Depth=1
	s_mov_b32 s10, 0x7f800001
	s_xor_b64 s[4:5], exec, -1
; %bb.1791:                             ;   in Loop: Header=BB4_62 Depth=1
	s_or_b64 exec, exec, s[8:9]
	s_and_b64 s[4:5], s[4:5], exec
	s_or_saveexec_b64 s[6:7], s[6:7]
	v_mov_b32_e32 v114, s10
	s_xor_b64 exec, exec, s[6:7]
	s_cbranch_execz .LBB4_768
.LBB4_1792:                             ;   in Loop: Header=BB4_62 Depth=1
	v_cmp_ne_u16_sdwa s[8:9], v96, v62 src0_sel:BYTE_1 src1_sel:DWORD
	s_andn2_b64 s[4:5], s[4:5], exec
	s_and_b64 s[8:9], s[8:9], exec
	v_mov_b32_e32 v114, 0
	s_or_b64 s[4:5], s[4:5], s[8:9]
	s_or_b64 exec, exec, s[6:7]
	s_and_saveexec_b64 s[6:7], s[4:5]
	s_cbranch_execnz .LBB4_769
	s_branch .LBB4_770
.LBB4_1793:                             ;   in Loop: Header=BB4_62 Depth=1
	v_cmp_eq_u16_e32 vcc, s25, v4
	s_mov_b64 s[4:5], -1
                                        ; implicit-def: $sgpr10
	s_and_saveexec_b64 s[8:9], vcc
; %bb.1794:                             ;   in Loop: Header=BB4_62 Depth=1
	s_mov_b32 s10, 0x7f800001
	s_xor_b64 s[4:5], exec, -1
; %bb.1795:                             ;   in Loop: Header=BB4_62 Depth=1
	s_or_b64 exec, exec, s[8:9]
	s_and_b64 s[4:5], s[4:5], exec
                                        ; implicit-def: $vgpr4
	s_or_saveexec_b64 s[6:7], s[6:7]
	v_mov_b32_e32 v91, s10
	s_xor_b64 exec, exec, s[6:7]
	s_cbranch_execz .LBB4_772
.LBB4_1796:                             ;   in Loop: Header=BB4_62 Depth=1
	v_cmp_ne_u16_e32 vcc, 0, v4
	s_andn2_b64 s[4:5], s[4:5], exec
	s_and_b64 s[8:9], vcc, exec
	v_mov_b32_e32 v91, 0
	s_or_b64 s[4:5], s[4:5], s[8:9]
	s_or_b64 exec, exec, s[6:7]
	s_and_saveexec_b64 s[6:7], s[4:5]
	s_cbranch_execnz .LBB4_773
	s_branch .LBB4_774
.LBB4_1797:                             ;   in Loop: Header=BB4_62 Depth=1
	v_cmp_eq_u16_e32 vcc, s25, v4
	s_mov_b64 s[4:5], -1
                                        ; implicit-def: $sgpr10
	s_and_saveexec_b64 s[8:9], vcc
; %bb.1798:                             ;   in Loop: Header=BB4_62 Depth=1
	s_mov_b32 s10, 0x7f800001
	s_xor_b64 s[4:5], exec, -1
; %bb.1799:                             ;   in Loop: Header=BB4_62 Depth=1
	s_or_b64 exec, exec, s[8:9]
	s_and_b64 s[4:5], s[4:5], exec
	s_or_saveexec_b64 s[6:7], s[6:7]
	v_mov_b32_e32 v92, s10
	s_xor_b64 exec, exec, s[6:7]
	s_cbranch_execz .LBB4_776
.LBB4_1800:                             ;   in Loop: Header=BB4_62 Depth=1
	v_cmp_ne_u16_e32 vcc, 0, v4
	s_andn2_b64 s[4:5], s[4:5], exec
	s_and_b64 s[8:9], vcc, exec
	v_mov_b32_e32 v92, 0
	s_or_b64 s[4:5], s[4:5], s[8:9]
	s_or_b64 exec, exec, s[6:7]
	s_and_saveexec_b64 s[6:7], s[4:5]
	s_cbranch_execnz .LBB4_777
	s_branch .LBB4_778
.LBB4_1801:                             ;   in Loop: Header=BB4_62 Depth=1
	v_cmp_eq_u16_sdwa s[12:13], v97, s25 src0_sel:BYTE_0 src1_sel:DWORD
	s_mov_b64 s[4:5], -1
                                        ; implicit-def: $sgpr10
	s_and_saveexec_b64 s[8:9], s[12:13]
; %bb.1802:                             ;   in Loop: Header=BB4_62 Depth=1
	s_mov_b32 s10, 0x7f800001
	s_xor_b64 s[4:5], exec, -1
; %bb.1803:                             ;   in Loop: Header=BB4_62 Depth=1
	s_or_b64 exec, exec, s[8:9]
	s_and_b64 s[4:5], s[4:5], exec
	s_or_saveexec_b64 s[6:7], s[6:7]
	v_mov_b32_e32 v96, s10
	s_xor_b64 exec, exec, s[6:7]
	s_cbranch_execz .LBB4_780
.LBB4_1804:                             ;   in Loop: Header=BB4_62 Depth=1
	v_cmp_ne_u16_sdwa s[8:9], v97, v62 src0_sel:BYTE_0 src1_sel:DWORD
	s_andn2_b64 s[4:5], s[4:5], exec
	s_and_b64 s[8:9], s[8:9], exec
	v_mov_b32_e32 v96, 0
	s_or_b64 s[4:5], s[4:5], s[8:9]
	s_or_b64 exec, exec, s[6:7]
	s_and_saveexec_b64 s[6:7], s[4:5]
	s_cbranch_execnz .LBB4_781
	s_branch .LBB4_782
.LBB4_1805:                             ;   in Loop: Header=BB4_62 Depth=1
	v_cmp_eq_u16_sdwa s[12:13], v97, s25 src0_sel:BYTE_1 src1_sel:DWORD
	s_mov_b64 s[4:5], -1
                                        ; implicit-def: $sgpr10
	s_and_saveexec_b64 s[8:9], s[12:13]
; %bb.1806:                             ;   in Loop: Header=BB4_62 Depth=1
	s_mov_b32 s10, 0x7f800001
	s_xor_b64 s[4:5], exec, -1
; %bb.1807:                             ;   in Loop: Header=BB4_62 Depth=1
	s_or_b64 exec, exec, s[8:9]
	s_and_b64 s[4:5], s[4:5], exec
	s_or_saveexec_b64 s[6:7], s[6:7]
	v_mov_b32_e32 v93, s10
	s_xor_b64 exec, exec, s[6:7]
	s_cbranch_execz .LBB4_784
.LBB4_1808:                             ;   in Loop: Header=BB4_62 Depth=1
	v_cmp_ne_u16_sdwa s[8:9], v97, v62 src0_sel:BYTE_1 src1_sel:DWORD
	s_andn2_b64 s[4:5], s[4:5], exec
	s_and_b64 s[8:9], s[8:9], exec
	v_mov_b32_e32 v93, 0
	s_or_b64 s[4:5], s[4:5], s[8:9]
	s_or_b64 exec, exec, s[6:7]
	s_and_saveexec_b64 s[6:7], s[4:5]
	s_cbranch_execnz .LBB4_785
	s_branch .LBB4_786
.LBB4_1809:                             ;   in Loop: Header=BB4_62 Depth=1
	v_cmp_eq_u16_e32 vcc, s25, v4
	s_mov_b64 s[4:5], -1
                                        ; implicit-def: $sgpr10
	s_and_saveexec_b64 s[8:9], vcc
; %bb.1810:                             ;   in Loop: Header=BB4_62 Depth=1
	s_mov_b32 s10, 0x7f800001
	s_xor_b64 s[4:5], exec, -1
; %bb.1811:                             ;   in Loop: Header=BB4_62 Depth=1
	s_or_b64 exec, exec, s[8:9]
	s_and_b64 s[4:5], s[4:5], exec
                                        ; implicit-def: $vgpr4
	s_or_saveexec_b64 s[6:7], s[6:7]
	v_mov_b32_e32 v94, s10
	s_xor_b64 exec, exec, s[6:7]
	s_cbranch_execz .LBB4_788
.LBB4_1812:                             ;   in Loop: Header=BB4_62 Depth=1
	v_cmp_ne_u16_e32 vcc, 0, v4
	s_andn2_b64 s[4:5], s[4:5], exec
	s_and_b64 s[8:9], vcc, exec
	v_mov_b32_e32 v94, 0
	s_or_b64 s[4:5], s[4:5], s[8:9]
	s_or_b64 exec, exec, s[6:7]
	s_and_saveexec_b64 s[6:7], s[4:5]
	s_cbranch_execnz .LBB4_789
	s_branch .LBB4_790
.LBB4_1813:                             ;   in Loop: Header=BB4_62 Depth=1
	v_cmp_eq_u16_e32 vcc, s25, v4
	s_mov_b64 s[4:5], -1
                                        ; implicit-def: $sgpr10
	s_and_saveexec_b64 s[8:9], vcc
; %bb.1814:                             ;   in Loop: Header=BB4_62 Depth=1
	s_mov_b32 s10, 0x7f800001
	s_xor_b64 s[4:5], exec, -1
; %bb.1815:                             ;   in Loop: Header=BB4_62 Depth=1
	s_or_b64 exec, exec, s[8:9]
	s_and_b64 s[4:5], s[4:5], exec
	s_or_saveexec_b64 s[6:7], s[6:7]
	v_mov_b32_e32 v95, s10
	s_xor_b64 exec, exec, s[6:7]
	s_cbranch_execz .LBB4_792
.LBB4_1816:                             ;   in Loop: Header=BB4_62 Depth=1
	v_cmp_ne_u16_e32 vcc, 0, v4
	s_andn2_b64 s[4:5], s[4:5], exec
	s_and_b64 s[8:9], vcc, exec
	v_mov_b32_e32 v95, 0
	s_or_b64 s[4:5], s[4:5], s[8:9]
	s_or_b64 exec, exec, s[6:7]
	s_and_saveexec_b64 s[6:7], s[4:5]
	s_cbranch_execnz .LBB4_793
	s_branch .LBB4_794
.LBB4_1817:                             ;   in Loop: Header=BB4_62 Depth=1
	v_cmp_eq_u16_sdwa s[12:13], v98, s25 src0_sel:BYTE_0 src1_sel:DWORD
	s_mov_b64 s[4:5], -1
                                        ; implicit-def: $sgpr10
	s_and_saveexec_b64 s[8:9], s[12:13]
; %bb.1818:                             ;   in Loop: Header=BB4_62 Depth=1
	s_mov_b32 s10, 0x7f800001
	s_xor_b64 s[4:5], exec, -1
; %bb.1819:                             ;   in Loop: Header=BB4_62 Depth=1
	s_or_b64 exec, exec, s[8:9]
	s_and_b64 s[4:5], s[4:5], exec
	s_or_saveexec_b64 s[6:7], s[6:7]
	v_mov_b32_e32 v97, s10
	s_xor_b64 exec, exec, s[6:7]
	s_cbranch_execz .LBB4_796
.LBB4_1820:                             ;   in Loop: Header=BB4_62 Depth=1
	v_cmp_ne_u16_sdwa s[8:9], v98, v62 src0_sel:BYTE_0 src1_sel:DWORD
	s_andn2_b64 s[4:5], s[4:5], exec
	s_and_b64 s[8:9], s[8:9], exec
	v_mov_b32_e32 v97, 0
	s_or_b64 s[4:5], s[4:5], s[8:9]
	s_or_b64 exec, exec, s[6:7]
	s_and_saveexec_b64 s[6:7], s[4:5]
	s_cbranch_execnz .LBB4_797
	s_branch .LBB4_798
.LBB4_1821:                             ;   in Loop: Header=BB4_62 Depth=1
	v_cmp_eq_u16_sdwa s[12:13], v98, s25 src0_sel:BYTE_1 src1_sel:DWORD
	s_mov_b64 s[4:5], -1
                                        ; implicit-def: $sgpr10
	s_and_saveexec_b64 s[8:9], s[12:13]
; %bb.1822:                             ;   in Loop: Header=BB4_62 Depth=1
	s_mov_b32 s10, 0x7f800001
	s_xor_b64 s[4:5], exec, -1
; %bb.1823:                             ;   in Loop: Header=BB4_62 Depth=1
	s_or_b64 exec, exec, s[8:9]
	s_and_b64 s[4:5], s[4:5], exec
	s_or_saveexec_b64 s[6:7], s[6:7]
	v_mov_b32_e32 v104, s10
	s_xor_b64 exec, exec, s[6:7]
	s_cbranch_execz .LBB4_800
.LBB4_1824:                             ;   in Loop: Header=BB4_62 Depth=1
	v_cmp_ne_u16_sdwa s[8:9], v98, v62 src0_sel:BYTE_1 src1_sel:DWORD
	s_andn2_b64 s[4:5], s[4:5], exec
	s_and_b64 s[8:9], s[8:9], exec
	v_mov_b32_e32 v104, 0
	s_or_b64 s[4:5], s[4:5], s[8:9]
	s_or_b64 exec, exec, s[6:7]
	s_and_saveexec_b64 s[6:7], s[4:5]
	s_cbranch_execnz .LBB4_801
	s_branch .LBB4_802
.LBB4_1825:                             ;   in Loop: Header=BB4_62 Depth=1
	v_cmp_eq_u16_e32 vcc, s25, v4
	s_mov_b64 s[4:5], -1
                                        ; implicit-def: $sgpr10
	s_and_saveexec_b64 s[8:9], vcc
; %bb.1826:                             ;   in Loop: Header=BB4_62 Depth=1
	s_mov_b32 s10, 0x7f800001
	s_xor_b64 s[4:5], exec, -1
; %bb.1827:                             ;   in Loop: Header=BB4_62 Depth=1
	s_or_b64 exec, exec, s[8:9]
	s_and_b64 s[4:5], s[4:5], exec
                                        ; implicit-def: $vgpr4
	s_or_saveexec_b64 s[6:7], s[6:7]
	v_mov_b32_e32 v105, s10
	s_xor_b64 exec, exec, s[6:7]
	s_cbranch_execz .LBB4_804
.LBB4_1828:                             ;   in Loop: Header=BB4_62 Depth=1
	v_cmp_ne_u16_e32 vcc, 0, v4
	s_andn2_b64 s[4:5], s[4:5], exec
	s_and_b64 s[8:9], vcc, exec
	v_mov_b32_e32 v105, 0
	s_or_b64 s[4:5], s[4:5], s[8:9]
	s_or_b64 exec, exec, s[6:7]
	s_and_saveexec_b64 s[6:7], s[4:5]
	s_cbranch_execnz .LBB4_805
	s_branch .LBB4_806
.LBB4_1829:                             ;   in Loop: Header=BB4_62 Depth=1
	v_cmp_eq_u16_e32 vcc, s25, v5
	s_mov_b64 s[4:5], -1
                                        ; implicit-def: $sgpr10
	s_and_saveexec_b64 s[8:9], vcc
; %bb.1830:                             ;   in Loop: Header=BB4_62 Depth=1
	s_mov_b32 s10, 0x7f800001
	s_xor_b64 s[4:5], exec, -1
; %bb.1831:                             ;   in Loop: Header=BB4_62 Depth=1
	s_or_b64 exec, exec, s[8:9]
	s_and_b64 s[4:5], s[4:5], exec
	s_or_saveexec_b64 s[6:7], s[6:7]
	v_mov_b32_e32 v4, s10
	s_xor_b64 exec, exec, s[6:7]
	s_cbranch_execz .LBB4_808
.LBB4_1832:                             ;   in Loop: Header=BB4_62 Depth=1
	v_cmp_ne_u16_e32 vcc, 0, v5
	s_andn2_b64 s[4:5], s[4:5], exec
	s_and_b64 s[8:9], vcc, exec
	v_mov_b32_e32 v4, 0
	s_or_b64 s[4:5], s[4:5], s[8:9]
	s_or_b64 exec, exec, s[6:7]
	s_and_saveexec_b64 s[6:7], s[4:5]
	s_cbranch_execnz .LBB4_809
	s_branch .LBB4_810
.LBB4_1833:                             ;   in Loop: Header=BB4_62 Depth=1
	v_cmp_eq_u16_sdwa s[12:13], v99, s25 src0_sel:BYTE_0 src1_sel:DWORD
	s_mov_b64 s[4:5], -1
                                        ; implicit-def: $sgpr10
	s_and_saveexec_b64 s[8:9], s[12:13]
; %bb.1834:                             ;   in Loop: Header=BB4_62 Depth=1
	s_mov_b32 s10, 0x7f800001
	s_xor_b64 s[4:5], exec, -1
; %bb.1835:                             ;   in Loop: Header=BB4_62 Depth=1
	s_or_b64 exec, exec, s[8:9]
	s_and_b64 s[4:5], s[4:5], exec
	s_or_saveexec_b64 s[6:7], s[6:7]
	v_mov_b32_e32 v5, s10
	s_xor_b64 exec, exec, s[6:7]
	s_cbranch_execz .LBB4_812
.LBB4_1836:                             ;   in Loop: Header=BB4_62 Depth=1
	v_cmp_ne_u16_sdwa s[8:9], v99, v62 src0_sel:BYTE_0 src1_sel:DWORD
	s_andn2_b64 s[4:5], s[4:5], exec
	s_and_b64 s[8:9], s[8:9], exec
	v_mov_b32_e32 v5, 0
	s_or_b64 s[4:5], s[4:5], s[8:9]
	s_or_b64 exec, exec, s[6:7]
	s_and_saveexec_b64 s[6:7], s[4:5]
	s_cbranch_execnz .LBB4_813
	s_branch .LBB4_814
.LBB4_1837:                             ;   in Loop: Header=BB4_62 Depth=1
	v_cmp_eq_u16_sdwa s[12:13], v99, s25 src0_sel:BYTE_1 src1_sel:DWORD
	s_mov_b64 s[4:5], -1
                                        ; implicit-def: $sgpr10
	s_and_saveexec_b64 s[8:9], s[12:13]
; %bb.1838:                             ;   in Loop: Header=BB4_62 Depth=1
	s_mov_b32 s10, 0x7f800001
	s_xor_b64 s[4:5], exec, -1
; %bb.1839:                             ;   in Loop: Header=BB4_62 Depth=1
	s_or_b64 exec, exec, s[8:9]
	s_and_b64 s[4:5], s[4:5], exec
	s_or_saveexec_b64 s[6:7], s[6:7]
	v_mov_b32_e32 v6, s10
	s_xor_b64 exec, exec, s[6:7]
	s_cbranch_execz .LBB4_816
.LBB4_1840:                             ;   in Loop: Header=BB4_62 Depth=1
	v_cmp_ne_u16_sdwa s[8:9], v99, v62 src0_sel:BYTE_1 src1_sel:DWORD
	s_andn2_b64 s[4:5], s[4:5], exec
	s_and_b64 s[8:9], s[8:9], exec
	v_mov_b32_e32 v6, 0
	s_or_b64 s[4:5], s[4:5], s[8:9]
	s_or_b64 exec, exec, s[6:7]
	s_and_saveexec_b64 s[6:7], s[4:5]
	s_cbranch_execnz .LBB4_817
	s_branch .LBB4_818
.LBB4_1841:                             ;   in Loop: Header=BB4_62 Depth=1
	v_cmp_eq_u16_e32 vcc, s25, v8
	s_mov_b64 s[4:5], -1
                                        ; implicit-def: $sgpr10
	s_and_saveexec_b64 s[8:9], vcc
; %bb.1842:                             ;   in Loop: Header=BB4_62 Depth=1
	s_mov_b32 s10, 0x7f800001
	s_xor_b64 s[4:5], exec, -1
; %bb.1843:                             ;   in Loop: Header=BB4_62 Depth=1
	s_or_b64 exec, exec, s[8:9]
	s_and_b64 s[4:5], s[4:5], exec
                                        ; implicit-def: $vgpr8
	s_or_saveexec_b64 s[6:7], s[6:7]
	v_mov_b32_e32 v7, s10
	s_xor_b64 exec, exec, s[6:7]
	s_cbranch_execz .LBB4_820
.LBB4_1844:                             ;   in Loop: Header=BB4_62 Depth=1
	v_cmp_ne_u16_e32 vcc, 0, v8
	s_andn2_b64 s[4:5], s[4:5], exec
	s_and_b64 s[8:9], vcc, exec
	v_mov_b32_e32 v7, 0
	s_or_b64 s[4:5], s[4:5], s[8:9]
	s_or_b64 exec, exec, s[6:7]
	s_and_saveexec_b64 s[6:7], s[4:5]
	s_cbranch_execnz .LBB4_821
	s_branch .LBB4_822
.LBB4_1845:                             ;   in Loop: Header=BB4_62 Depth=1
	v_cmp_eq_u16_e32 vcc, s25, v98
	s_mov_b64 s[4:5], -1
                                        ; implicit-def: $sgpr10
	s_and_saveexec_b64 s[8:9], vcc
; %bb.1846:                             ;   in Loop: Header=BB4_62 Depth=1
	s_mov_b32 s10, 0x7f800001
	s_xor_b64 s[4:5], exec, -1
; %bb.1847:                             ;   in Loop: Header=BB4_62 Depth=1
	s_or_b64 exec, exec, s[8:9]
	s_and_b64 s[4:5], s[4:5], exec
	s_or_saveexec_b64 s[6:7], s[6:7]
	v_mov_b32_e32 v106, s10
	s_xor_b64 exec, exec, s[6:7]
	s_cbranch_execz .LBB4_824
.LBB4_1848:                             ;   in Loop: Header=BB4_62 Depth=1
	v_cmp_ne_u16_e32 vcc, 0, v98
	s_andn2_b64 s[4:5], s[4:5], exec
	s_and_b64 s[8:9], vcc, exec
	v_mov_b32_e32 v106, 0
	s_or_b64 s[4:5], s[4:5], s[8:9]
	s_or_b64 exec, exec, s[6:7]
	s_and_saveexec_b64 s[6:7], s[4:5]
	s_cbranch_execnz .LBB4_825
	s_branch .LBB4_826
.LBB4_1849:                             ;   in Loop: Header=BB4_62 Depth=1
	v_cmp_eq_u16_sdwa s[12:13], v96, s25 src0_sel:BYTE_0 src1_sel:DWORD
	s_mov_b64 s[4:5], -1
                                        ; implicit-def: $sgpr10
	s_and_saveexec_b64 s[8:9], s[12:13]
; %bb.1850:                             ;   in Loop: Header=BB4_62 Depth=1
	s_mov_b32 s10, 0x7f800001
	s_xor_b64 s[4:5], exec, -1
; %bb.1851:                             ;   in Loop: Header=BB4_62 Depth=1
	s_or_b64 exec, exec, s[8:9]
	s_and_b64 s[4:5], s[4:5], exec
	s_or_saveexec_b64 s[6:7], s[6:7]
	v_mov_b32_e32 v77, s10
	s_xor_b64 exec, exec, s[6:7]
	s_cbranch_execz .LBB4_828
.LBB4_1852:                             ;   in Loop: Header=BB4_62 Depth=1
	v_cmp_ne_u16_sdwa s[8:9], v96, v62 src0_sel:BYTE_0 src1_sel:DWORD
	s_andn2_b64 s[4:5], s[4:5], exec
	s_and_b64 s[8:9], s[8:9], exec
	v_mov_b32_e32 v77, 0
	s_or_b64 s[4:5], s[4:5], s[8:9]
	s_or_b64 exec, exec, s[6:7]
	s_and_saveexec_b64 s[6:7], s[4:5]
	s_cbranch_execnz .LBB4_829
	s_branch .LBB4_830
.LBB4_1853:                             ;   in Loop: Header=BB4_62 Depth=1
	v_cmp_eq_u16_sdwa s[12:13], v96, s25 src0_sel:BYTE_1 src1_sel:DWORD
	s_mov_b64 s[4:5], -1
                                        ; implicit-def: $sgpr10
	s_and_saveexec_b64 s[8:9], s[12:13]
; %bb.1854:                             ;   in Loop: Header=BB4_62 Depth=1
	s_mov_b32 s10, 0x7f800001
	s_xor_b64 s[4:5], exec, -1
; %bb.1855:                             ;   in Loop: Header=BB4_62 Depth=1
	s_or_b64 exec, exec, s[8:9]
	s_and_b64 s[4:5], s[4:5], exec
	s_or_saveexec_b64 s[6:7], s[6:7]
	v_mov_b32_e32 v88, s10
	s_xor_b64 exec, exec, s[6:7]
	s_cbranch_execz .LBB4_832
.LBB4_1856:                             ;   in Loop: Header=BB4_62 Depth=1
	v_cmp_ne_u16_sdwa s[8:9], v96, v62 src0_sel:BYTE_1 src1_sel:DWORD
	s_andn2_b64 s[4:5], s[4:5], exec
	s_and_b64 s[8:9], s[8:9], exec
	v_mov_b32_e32 v88, 0
	s_or_b64 s[4:5], s[4:5], s[8:9]
	s_or_b64 exec, exec, s[6:7]
	s_and_saveexec_b64 s[6:7], s[4:5]
	s_cbranch_execnz .LBB4_833
	s_branch .LBB4_834
.LBB4_1857:                             ;   in Loop: Header=BB4_62 Depth=1
	v_cmp_eq_u16_e32 vcc, s25, v4
	s_mov_b64 s[4:5], -1
                                        ; implicit-def: $sgpr10
	s_and_saveexec_b64 s[8:9], vcc
; %bb.1858:                             ;   in Loop: Header=BB4_62 Depth=1
	s_mov_b32 s10, 0x7f800001
	s_xor_b64 s[4:5], exec, -1
; %bb.1859:                             ;   in Loop: Header=BB4_62 Depth=1
	s_or_b64 exec, exec, s[8:9]
	s_and_b64 s[4:5], s[4:5], exec
                                        ; implicit-def: $vgpr4
	s_or_saveexec_b64 s[6:7], s[6:7]
	v_mov_b32_e32 v89, s10
	s_xor_b64 exec, exec, s[6:7]
	s_cbranch_execz .LBB4_836
.LBB4_1860:                             ;   in Loop: Header=BB4_62 Depth=1
	v_cmp_ne_u16_e32 vcc, 0, v4
	s_andn2_b64 s[4:5], s[4:5], exec
	s_and_b64 s[8:9], vcc, exec
	v_mov_b32_e32 v89, 0
	s_or_b64 s[4:5], s[4:5], s[8:9]
	s_or_b64 exec, exec, s[6:7]
	s_and_saveexec_b64 s[6:7], s[4:5]
	s_cbranch_execnz .LBB4_837
	s_branch .LBB4_838
.LBB4_1861:                             ;   in Loop: Header=BB4_62 Depth=1
	v_cmp_eq_u16_e32 vcc, s25, v4
	s_mov_b64 s[4:5], -1
                                        ; implicit-def: $sgpr10
	s_and_saveexec_b64 s[8:9], vcc
; %bb.1862:                             ;   in Loop: Header=BB4_62 Depth=1
	s_mov_b32 s10, 0x7f800001
	s_xor_b64 s[4:5], exec, -1
; %bb.1863:                             ;   in Loop: Header=BB4_62 Depth=1
	s_or_b64 exec, exec, s[8:9]
	s_and_b64 s[4:5], s[4:5], exec
	s_or_saveexec_b64 s[6:7], s[6:7]
	v_mov_b32_e32 v90, s10
	s_xor_b64 exec, exec, s[6:7]
	s_cbranch_execz .LBB4_840
.LBB4_1864:                             ;   in Loop: Header=BB4_62 Depth=1
	v_cmp_ne_u16_e32 vcc, 0, v4
	s_andn2_b64 s[4:5], s[4:5], exec
	s_and_b64 s[8:9], vcc, exec
	v_mov_b32_e32 v90, 0
	s_or_b64 s[4:5], s[4:5], s[8:9]
	s_or_b64 exec, exec, s[6:7]
	s_and_saveexec_b64 s[6:7], s[4:5]
	s_cbranch_execnz .LBB4_841
	s_branch .LBB4_842
.LBB4_1865:                             ;   in Loop: Header=BB4_62 Depth=1
	v_cmp_eq_u16_sdwa s[12:13], v97, s25 src0_sel:BYTE_0 src1_sel:DWORD
	s_mov_b64 s[4:5], -1
                                        ; implicit-def: $sgpr10
	s_and_saveexec_b64 s[8:9], s[12:13]
; %bb.1866:                             ;   in Loop: Header=BB4_62 Depth=1
	s_mov_b32 s10, 0x7f800001
	s_xor_b64 s[4:5], exec, -1
; %bb.1867:                             ;   in Loop: Header=BB4_62 Depth=1
	s_or_b64 exec, exec, s[8:9]
	s_and_b64 s[4:5], s[4:5], exec
	s_or_saveexec_b64 s[6:7], s[6:7]
	v_mov_b32_e32 v96, s10
	s_xor_b64 exec, exec, s[6:7]
	s_cbranch_execz .LBB4_844
.LBB4_1868:                             ;   in Loop: Header=BB4_62 Depth=1
	v_cmp_ne_u16_sdwa s[8:9], v97, v62 src0_sel:BYTE_0 src1_sel:DWORD
	s_andn2_b64 s[4:5], s[4:5], exec
	s_and_b64 s[8:9], s[8:9], exec
	v_mov_b32_e32 v96, 0
	s_or_b64 s[4:5], s[4:5], s[8:9]
	s_or_b64 exec, exec, s[6:7]
	s_and_saveexec_b64 s[6:7], s[4:5]
	s_cbranch_execnz .LBB4_845
	s_branch .LBB4_846
.LBB4_1869:                             ;   in Loop: Header=BB4_62 Depth=1
	v_cmp_eq_u16_sdwa s[12:13], v97, s25 src0_sel:BYTE_1 src1_sel:DWORD
	s_mov_b64 s[4:5], -1
                                        ; implicit-def: $sgpr10
	s_and_saveexec_b64 s[8:9], s[12:13]
; %bb.1870:                             ;   in Loop: Header=BB4_62 Depth=1
	s_mov_b32 s10, 0x7f800001
	s_xor_b64 s[4:5], exec, -1
; %bb.1871:                             ;   in Loop: Header=BB4_62 Depth=1
	s_or_b64 exec, exec, s[8:9]
	s_and_b64 s[4:5], s[4:5], exec
	s_or_saveexec_b64 s[6:7], s[6:7]
	v_mov_b32_e32 v91, s10
	s_xor_b64 exec, exec, s[6:7]
	s_cbranch_execz .LBB4_848
.LBB4_1872:                             ;   in Loop: Header=BB4_62 Depth=1
	v_cmp_ne_u16_sdwa s[8:9], v97, v62 src0_sel:BYTE_1 src1_sel:DWORD
	s_andn2_b64 s[4:5], s[4:5], exec
	s_and_b64 s[8:9], s[8:9], exec
	v_mov_b32_e32 v91, 0
	s_or_b64 s[4:5], s[4:5], s[8:9]
	s_or_b64 exec, exec, s[6:7]
	s_and_saveexec_b64 s[6:7], s[4:5]
	s_cbranch_execnz .LBB4_849
	s_branch .LBB4_850
.LBB4_1873:                             ;   in Loop: Header=BB4_62 Depth=1
	v_cmp_eq_u16_e32 vcc, s25, v4
	s_mov_b64 s[4:5], -1
                                        ; implicit-def: $sgpr10
	s_and_saveexec_b64 s[8:9], vcc
; %bb.1874:                             ;   in Loop: Header=BB4_62 Depth=1
	s_mov_b32 s10, 0x7f800001
	s_xor_b64 s[4:5], exec, -1
; %bb.1875:                             ;   in Loop: Header=BB4_62 Depth=1
	s_or_b64 exec, exec, s[8:9]
	s_and_b64 s[4:5], s[4:5], exec
                                        ; implicit-def: $vgpr4
	s_or_saveexec_b64 s[6:7], s[6:7]
	v_mov_b32_e32 v92, s10
	s_xor_b64 exec, exec, s[6:7]
	s_cbranch_execz .LBB4_852
.LBB4_1876:                             ;   in Loop: Header=BB4_62 Depth=1
	v_cmp_ne_u16_e32 vcc, 0, v4
	s_andn2_b64 s[4:5], s[4:5], exec
	s_and_b64 s[8:9], vcc, exec
	v_mov_b32_e32 v92, 0
	s_or_b64 s[4:5], s[4:5], s[8:9]
	s_or_b64 exec, exec, s[6:7]
	s_and_saveexec_b64 s[6:7], s[4:5]
	s_cbranch_execnz .LBB4_853
	s_branch .LBB4_854
.LBB4_1877:                             ;   in Loop: Header=BB4_62 Depth=1
	v_cmp_eq_u16_e32 vcc, s25, v4
	s_mov_b64 s[4:5], -1
                                        ; implicit-def: $sgpr10
	s_and_saveexec_b64 s[8:9], vcc
; %bb.1878:                             ;   in Loop: Header=BB4_62 Depth=1
	s_mov_b32 s10, 0x7f800001
	s_xor_b64 s[4:5], exec, -1
; %bb.1879:                             ;   in Loop: Header=BB4_62 Depth=1
	s_or_b64 exec, exec, s[8:9]
	s_and_b64 s[4:5], s[4:5], exec
	s_or_saveexec_b64 s[6:7], s[6:7]
	v_mov_b32_e32 v93, s10
	s_xor_b64 exec, exec, s[6:7]
	s_cbranch_execz .LBB4_856
.LBB4_1880:                             ;   in Loop: Header=BB4_62 Depth=1
	v_cmp_ne_u16_e32 vcc, 0, v4
	s_andn2_b64 s[4:5], s[4:5], exec
	s_and_b64 s[8:9], vcc, exec
	v_mov_b32_e32 v93, 0
	s_or_b64 s[4:5], s[4:5], s[8:9]
	s_or_b64 exec, exec, s[6:7]
	s_and_saveexec_b64 s[6:7], s[4:5]
	s_cbranch_execnz .LBB4_857
	s_branch .LBB4_858
.LBB4_1881:                             ;   in Loop: Header=BB4_62 Depth=1
	v_cmp_eq_u16_sdwa s[12:13], v98, s25 src0_sel:BYTE_0 src1_sel:DWORD
	s_mov_b64 s[4:5], -1
                                        ; implicit-def: $sgpr10
	s_and_saveexec_b64 s[8:9], s[12:13]
; %bb.1882:                             ;   in Loop: Header=BB4_62 Depth=1
	s_mov_b32 s10, 0x7f800001
	s_xor_b64 s[4:5], exec, -1
; %bb.1883:                             ;   in Loop: Header=BB4_62 Depth=1
	s_or_b64 exec, exec, s[8:9]
	s_and_b64 s[4:5], s[4:5], exec
	s_or_saveexec_b64 s[6:7], s[6:7]
	v_mov_b32_e32 v97, s10
	s_xor_b64 exec, exec, s[6:7]
	s_cbranch_execz .LBB4_860
.LBB4_1884:                             ;   in Loop: Header=BB4_62 Depth=1
	v_cmp_ne_u16_sdwa s[8:9], v98, v62 src0_sel:BYTE_0 src1_sel:DWORD
	s_andn2_b64 s[4:5], s[4:5], exec
	s_and_b64 s[8:9], s[8:9], exec
	v_mov_b32_e32 v97, 0
	s_or_b64 s[4:5], s[4:5], s[8:9]
	s_or_b64 exec, exec, s[6:7]
	s_and_saveexec_b64 s[6:7], s[4:5]
	s_cbranch_execnz .LBB4_861
	s_branch .LBB4_862
.LBB4_1885:                             ;   in Loop: Header=BB4_62 Depth=1
	v_cmp_eq_u16_sdwa s[12:13], v98, s25 src0_sel:BYTE_1 src1_sel:DWORD
	s_mov_b64 s[4:5], -1
                                        ; implicit-def: $sgpr10
	s_and_saveexec_b64 s[8:9], s[12:13]
; %bb.1886:                             ;   in Loop: Header=BB4_62 Depth=1
	s_mov_b32 s10, 0x7f800001
	s_xor_b64 s[4:5], exec, -1
; %bb.1887:                             ;   in Loop: Header=BB4_62 Depth=1
	s_or_b64 exec, exec, s[8:9]
	s_and_b64 s[4:5], s[4:5], exec
	s_or_saveexec_b64 s[6:7], s[6:7]
	v_mov_b32_e32 v94, s10
	s_xor_b64 exec, exec, s[6:7]
	s_cbranch_execz .LBB4_864
.LBB4_1888:                             ;   in Loop: Header=BB4_62 Depth=1
	v_cmp_ne_u16_sdwa s[8:9], v98, v62 src0_sel:BYTE_1 src1_sel:DWORD
	s_andn2_b64 s[4:5], s[4:5], exec
	s_and_b64 s[8:9], s[8:9], exec
	v_mov_b32_e32 v94, 0
	s_or_b64 s[4:5], s[4:5], s[8:9]
	s_or_b64 exec, exec, s[6:7]
	s_and_saveexec_b64 s[6:7], s[4:5]
	s_cbranch_execnz .LBB4_865
	s_branch .LBB4_866
.LBB4_1889:                             ;   in Loop: Header=BB4_62 Depth=1
	v_cmp_eq_u16_e32 vcc, s25, v4
	s_mov_b64 s[4:5], -1
                                        ; implicit-def: $sgpr10
	s_and_saveexec_b64 s[8:9], vcc
; %bb.1890:                             ;   in Loop: Header=BB4_62 Depth=1
	s_mov_b32 s10, 0x7f800001
	s_xor_b64 s[4:5], exec, -1
; %bb.1891:                             ;   in Loop: Header=BB4_62 Depth=1
	s_or_b64 exec, exec, s[8:9]
	s_and_b64 s[4:5], s[4:5], exec
                                        ; implicit-def: $vgpr4
	s_or_saveexec_b64 s[6:7], s[6:7]
	v_mov_b32_e32 v95, s10
	s_xor_b64 exec, exec, s[6:7]
	s_cbranch_execz .LBB4_868
.LBB4_1892:                             ;   in Loop: Header=BB4_62 Depth=1
	v_cmp_ne_u16_e32 vcc, 0, v4
	s_andn2_b64 s[4:5], s[4:5], exec
	s_and_b64 s[8:9], vcc, exec
	v_mov_b32_e32 v95, 0
	s_or_b64 s[4:5], s[4:5], s[8:9]
	s_or_b64 exec, exec, s[6:7]
	s_and_saveexec_b64 s[6:7], s[4:5]
	s_cbranch_execnz .LBB4_869
	s_branch .LBB4_870
.LBB4_1893:                             ;   in Loop: Header=BB4_62 Depth=1
	v_cmp_eq_u16_e32 vcc, s25, v5
	s_mov_b64 s[4:5], -1
                                        ; implicit-def: $sgpr10
	s_and_saveexec_b64 s[8:9], vcc
; %bb.1894:                             ;   in Loop: Header=BB4_62 Depth=1
	s_mov_b32 s10, 0x7f800001
	s_xor_b64 s[4:5], exec, -1
; %bb.1895:                             ;   in Loop: Header=BB4_62 Depth=1
	s_or_b64 exec, exec, s[8:9]
	s_and_b64 s[4:5], s[4:5], exec
	s_or_saveexec_b64 s[6:7], s[6:7]
	v_mov_b32_e32 v4, s10
	s_xor_b64 exec, exec, s[6:7]
	s_cbranch_execz .LBB4_872
.LBB4_1896:                             ;   in Loop: Header=BB4_62 Depth=1
	v_cmp_ne_u16_e32 vcc, 0, v5
	s_andn2_b64 s[4:5], s[4:5], exec
	s_and_b64 s[8:9], vcc, exec
	v_mov_b32_e32 v4, 0
	s_or_b64 s[4:5], s[4:5], s[8:9]
	s_or_b64 exec, exec, s[6:7]
	s_and_saveexec_b64 s[6:7], s[4:5]
	s_cbranch_execnz .LBB4_873
	s_branch .LBB4_874
.LBB4_1897:                             ;   in Loop: Header=BB4_62 Depth=1
	v_cmp_eq_u16_sdwa s[12:13], v99, s25 src0_sel:BYTE_0 src1_sel:DWORD
	s_mov_b64 s[4:5], -1
                                        ; implicit-def: $sgpr10
	s_and_saveexec_b64 s[8:9], s[12:13]
; %bb.1898:                             ;   in Loop: Header=BB4_62 Depth=1
	s_mov_b32 s10, 0x7f800001
	s_xor_b64 s[4:5], exec, -1
; %bb.1899:                             ;   in Loop: Header=BB4_62 Depth=1
	s_or_b64 exec, exec, s[8:9]
	s_and_b64 s[4:5], s[4:5], exec
	s_or_saveexec_b64 s[6:7], s[6:7]
	v_mov_b32_e32 v5, s10
	s_xor_b64 exec, exec, s[6:7]
	s_cbranch_execz .LBB4_876
.LBB4_1900:                             ;   in Loop: Header=BB4_62 Depth=1
	v_cmp_ne_u16_sdwa s[8:9], v99, v62 src0_sel:BYTE_0 src1_sel:DWORD
	s_andn2_b64 s[4:5], s[4:5], exec
	s_and_b64 s[8:9], s[8:9], exec
	v_mov_b32_e32 v5, 0
	s_or_b64 s[4:5], s[4:5], s[8:9]
	s_or_b64 exec, exec, s[6:7]
	s_and_saveexec_b64 s[6:7], s[4:5]
	s_cbranch_execnz .LBB4_877
	s_branch .LBB4_878
.LBB4_1901:                             ;   in Loop: Header=BB4_62 Depth=1
	v_cmp_eq_u16_sdwa s[12:13], v99, s25 src0_sel:BYTE_1 src1_sel:DWORD
	s_mov_b64 s[4:5], -1
                                        ; implicit-def: $sgpr10
	s_and_saveexec_b64 s[8:9], s[12:13]
; %bb.1902:                             ;   in Loop: Header=BB4_62 Depth=1
	s_mov_b32 s10, 0x7f800001
	s_xor_b64 s[4:5], exec, -1
; %bb.1903:                             ;   in Loop: Header=BB4_62 Depth=1
	s_or_b64 exec, exec, s[8:9]
	s_and_b64 s[4:5], s[4:5], exec
	s_or_saveexec_b64 s[6:7], s[6:7]
	v_mov_b32_e32 v6, s10
	s_xor_b64 exec, exec, s[6:7]
	s_cbranch_execz .LBB4_880
.LBB4_1904:                             ;   in Loop: Header=BB4_62 Depth=1
	v_cmp_ne_u16_sdwa s[8:9], v99, v62 src0_sel:BYTE_1 src1_sel:DWORD
	s_andn2_b64 s[4:5], s[4:5], exec
	s_and_b64 s[8:9], s[8:9], exec
	v_mov_b32_e32 v6, 0
	s_or_b64 s[4:5], s[4:5], s[8:9]
	s_or_b64 exec, exec, s[6:7]
	s_and_saveexec_b64 s[6:7], s[4:5]
	s_cbranch_execnz .LBB4_881
	s_branch .LBB4_882
.LBB4_1905:                             ;   in Loop: Header=BB4_62 Depth=1
	v_cmp_eq_u16_e32 vcc, s25, v8
	s_mov_b64 s[4:5], -1
                                        ; implicit-def: $sgpr10
	s_and_saveexec_b64 s[8:9], vcc
; %bb.1906:                             ;   in Loop: Header=BB4_62 Depth=1
	s_mov_b32 s10, 0x7f800001
	s_xor_b64 s[4:5], exec, -1
; %bb.1907:                             ;   in Loop: Header=BB4_62 Depth=1
	s_or_b64 exec, exec, s[8:9]
	s_and_b64 s[4:5], s[4:5], exec
                                        ; implicit-def: $vgpr8
	s_or_saveexec_b64 s[6:7], s[6:7]
	v_mov_b32_e32 v7, s10
	s_xor_b64 exec, exec, s[6:7]
	s_cbranch_execz .LBB4_884
.LBB4_1908:                             ;   in Loop: Header=BB4_62 Depth=1
	v_cmp_ne_u16_e32 vcc, 0, v8
	s_andn2_b64 s[4:5], s[4:5], exec
	s_and_b64 s[8:9], vcc, exec
	v_mov_b32_e32 v7, 0
	s_or_b64 s[4:5], s[4:5], s[8:9]
	s_or_b64 exec, exec, s[6:7]
	s_and_saveexec_b64 s[6:7], s[4:5]
	s_cbranch_execnz .LBB4_885
	s_branch .LBB4_886
.LBB4_1909:                             ;   in Loop: Header=BB4_62 Depth=1
	v_cmp_eq_u16_e32 vcc, s25, v98
	s_mov_b64 s[4:5], -1
                                        ; implicit-def: $sgpr10
	s_and_saveexec_b64 s[8:9], vcc
; %bb.1910:                             ;   in Loop: Header=BB4_62 Depth=1
	s_mov_b32 s10, 0x7f800001
	s_xor_b64 s[4:5], exec, -1
; %bb.1911:                             ;   in Loop: Header=BB4_62 Depth=1
	s_or_b64 exec, exec, s[8:9]
	s_and_b64 s[4:5], s[4:5], exec
	s_or_saveexec_b64 s[6:7], s[6:7]
	v_mov_b32_e32 v104, s10
	s_xor_b64 exec, exec, s[6:7]
	s_cbranch_execz .LBB4_888
.LBB4_1912:                             ;   in Loop: Header=BB4_62 Depth=1
	v_cmp_ne_u16_e32 vcc, 0, v98
	s_andn2_b64 s[4:5], s[4:5], exec
	s_and_b64 s[8:9], vcc, exec
	v_mov_b32_e32 v104, 0
	s_or_b64 s[4:5], s[4:5], s[8:9]
	s_or_b64 exec, exec, s[6:7]
	s_and_saveexec_b64 s[6:7], s[4:5]
	s_cbranch_execnz .LBB4_889
	s_branch .LBB4_890
.LBB4_1913:                             ;   in Loop: Header=BB4_62 Depth=1
	v_cmp_eq_u16_sdwa s[12:13], v96, s25 src0_sel:BYTE_0 src1_sel:DWORD
	s_mov_b64 s[4:5], -1
                                        ; implicit-def: $sgpr10
	s_and_saveexec_b64 s[8:9], s[12:13]
; %bb.1914:                             ;   in Loop: Header=BB4_62 Depth=1
	s_mov_b32 s10, 0x7f800001
	s_xor_b64 s[4:5], exec, -1
; %bb.1915:                             ;   in Loop: Header=BB4_62 Depth=1
	s_or_b64 exec, exec, s[8:9]
	s_and_b64 s[4:5], s[4:5], exec
	s_or_saveexec_b64 s[6:7], s[6:7]
	v_mov_b32_e32 v78, s10
	s_xor_b64 exec, exec, s[6:7]
	s_cbranch_execz .LBB4_892
.LBB4_1916:                             ;   in Loop: Header=BB4_62 Depth=1
	v_cmp_ne_u16_sdwa s[8:9], v96, v62 src0_sel:BYTE_0 src1_sel:DWORD
	s_andn2_b64 s[4:5], s[4:5], exec
	s_and_b64 s[8:9], s[8:9], exec
	v_mov_b32_e32 v78, 0
	s_or_b64 s[4:5], s[4:5], s[8:9]
	s_or_b64 exec, exec, s[6:7]
	s_and_saveexec_b64 s[6:7], s[4:5]
	s_cbranch_execnz .LBB4_893
	s_branch .LBB4_894
.LBB4_1917:                             ;   in Loop: Header=BB4_62 Depth=1
	v_cmp_eq_u16_sdwa s[12:13], v96, s25 src0_sel:BYTE_1 src1_sel:DWORD
	s_mov_b64 s[4:5], -1
                                        ; implicit-def: $sgpr10
	s_and_saveexec_b64 s[8:9], s[12:13]
; %bb.1918:                             ;   in Loop: Header=BB4_62 Depth=1
	s_mov_b32 s10, 0x7f800001
	s_xor_b64 s[4:5], exec, -1
; %bb.1919:                             ;   in Loop: Header=BB4_62 Depth=1
	s_or_b64 exec, exec, s[8:9]
	s_and_b64 s[4:5], s[4:5], exec
	s_or_saveexec_b64 s[6:7], s[6:7]
	v_mov_b32_e32 v89, s10
	s_xor_b64 exec, exec, s[6:7]
	s_cbranch_execz .LBB4_896
.LBB4_1920:                             ;   in Loop: Header=BB4_62 Depth=1
	v_cmp_ne_u16_sdwa s[8:9], v96, v62 src0_sel:BYTE_1 src1_sel:DWORD
	s_andn2_b64 s[4:5], s[4:5], exec
	s_and_b64 s[8:9], s[8:9], exec
	v_mov_b32_e32 v89, 0
	s_or_b64 s[4:5], s[4:5], s[8:9]
	s_or_b64 exec, exec, s[6:7]
	s_and_saveexec_b64 s[6:7], s[4:5]
	s_cbranch_execnz .LBB4_897
	s_branch .LBB4_898
.LBB4_1921:                             ;   in Loop: Header=BB4_62 Depth=1
	v_cmp_eq_u16_e32 vcc, s25, v4
	s_mov_b64 s[4:5], -1
                                        ; implicit-def: $sgpr10
	s_and_saveexec_b64 s[8:9], vcc
; %bb.1922:                             ;   in Loop: Header=BB4_62 Depth=1
	s_mov_b32 s10, 0x7f800001
	s_xor_b64 s[4:5], exec, -1
; %bb.1923:                             ;   in Loop: Header=BB4_62 Depth=1
	s_or_b64 exec, exec, s[8:9]
	s_and_b64 s[4:5], s[4:5], exec
                                        ; implicit-def: $vgpr4
	s_or_saveexec_b64 s[6:7], s[6:7]
	v_mov_b32_e32 v90, s10
	s_xor_b64 exec, exec, s[6:7]
	s_cbranch_execz .LBB4_900
.LBB4_1924:                             ;   in Loop: Header=BB4_62 Depth=1
	v_cmp_ne_u16_e32 vcc, 0, v4
	s_andn2_b64 s[4:5], s[4:5], exec
	s_and_b64 s[8:9], vcc, exec
	v_mov_b32_e32 v90, 0
	s_or_b64 s[4:5], s[4:5], s[8:9]
	s_or_b64 exec, exec, s[6:7]
	s_and_saveexec_b64 s[6:7], s[4:5]
	s_cbranch_execnz .LBB4_901
	s_branch .LBB4_902
.LBB4_1925:                             ;   in Loop: Header=BB4_62 Depth=1
	v_cmp_eq_u16_e32 vcc, s25, v4
	s_mov_b64 s[4:5], -1
                                        ; implicit-def: $sgpr10
	s_and_saveexec_b64 s[8:9], vcc
; %bb.1926:                             ;   in Loop: Header=BB4_62 Depth=1
	s_mov_b32 s10, 0x7f800001
	s_xor_b64 s[4:5], exec, -1
; %bb.1927:                             ;   in Loop: Header=BB4_62 Depth=1
	s_or_b64 exec, exec, s[8:9]
	s_and_b64 s[4:5], s[4:5], exec
	s_or_saveexec_b64 s[6:7], s[6:7]
	v_mov_b32_e32 v91, s10
	s_xor_b64 exec, exec, s[6:7]
	s_cbranch_execz .LBB4_904
.LBB4_1928:                             ;   in Loop: Header=BB4_62 Depth=1
	v_cmp_ne_u16_e32 vcc, 0, v4
	s_andn2_b64 s[4:5], s[4:5], exec
	s_and_b64 s[8:9], vcc, exec
	v_mov_b32_e32 v91, 0
	s_or_b64 s[4:5], s[4:5], s[8:9]
	s_or_b64 exec, exec, s[6:7]
	s_and_saveexec_b64 s[6:7], s[4:5]
	s_cbranch_execnz .LBB4_905
	s_branch .LBB4_906
.LBB4_1929:                             ;   in Loop: Header=BB4_62 Depth=1
	v_cmp_eq_u16_sdwa s[12:13], v97, s25 src0_sel:BYTE_0 src1_sel:DWORD
	s_mov_b64 s[4:5], -1
                                        ; implicit-def: $sgpr10
	s_and_saveexec_b64 s[8:9], s[12:13]
; %bb.1930:                             ;   in Loop: Header=BB4_62 Depth=1
	s_mov_b32 s10, 0x7f800001
	s_xor_b64 s[4:5], exec, -1
; %bb.1931:                             ;   in Loop: Header=BB4_62 Depth=1
	s_or_b64 exec, exec, s[8:9]
	s_and_b64 s[4:5], s[4:5], exec
	s_or_saveexec_b64 s[6:7], s[6:7]
	v_mov_b32_e32 v96, s10
	s_xor_b64 exec, exec, s[6:7]
	s_cbranch_execz .LBB4_908
.LBB4_1932:                             ;   in Loop: Header=BB4_62 Depth=1
	v_cmp_ne_u16_sdwa s[8:9], v97, v62 src0_sel:BYTE_0 src1_sel:DWORD
	s_andn2_b64 s[4:5], s[4:5], exec
	s_and_b64 s[8:9], s[8:9], exec
	v_mov_b32_e32 v96, 0
	s_or_b64 s[4:5], s[4:5], s[8:9]
	s_or_b64 exec, exec, s[6:7]
	s_and_saveexec_b64 s[6:7], s[4:5]
	s_cbranch_execnz .LBB4_909
	s_branch .LBB4_910
.LBB4_1933:                             ;   in Loop: Header=BB4_62 Depth=1
	v_cmp_eq_u16_sdwa s[12:13], v97, s25 src0_sel:BYTE_1 src1_sel:DWORD
	s_mov_b64 s[4:5], -1
                                        ; implicit-def: $sgpr10
	s_and_saveexec_b64 s[8:9], s[12:13]
; %bb.1934:                             ;   in Loop: Header=BB4_62 Depth=1
	s_mov_b32 s10, 0x7f800001
	s_xor_b64 s[4:5], exec, -1
; %bb.1935:                             ;   in Loop: Header=BB4_62 Depth=1
	s_or_b64 exec, exec, s[8:9]
	s_and_b64 s[4:5], s[4:5], exec
	s_or_saveexec_b64 s[6:7], s[6:7]
	v_mov_b32_e32 v92, s10
	s_xor_b64 exec, exec, s[6:7]
	s_cbranch_execz .LBB4_912
.LBB4_1936:                             ;   in Loop: Header=BB4_62 Depth=1
	v_cmp_ne_u16_sdwa s[8:9], v97, v62 src0_sel:BYTE_1 src1_sel:DWORD
	s_andn2_b64 s[4:5], s[4:5], exec
	s_and_b64 s[8:9], s[8:9], exec
	v_mov_b32_e32 v92, 0
	s_or_b64 s[4:5], s[4:5], s[8:9]
	s_or_b64 exec, exec, s[6:7]
	s_and_saveexec_b64 s[6:7], s[4:5]
	s_cbranch_execnz .LBB4_913
	s_branch .LBB4_914
.LBB4_1937:                             ;   in Loop: Header=BB4_62 Depth=1
	v_cmp_eq_u16_e32 vcc, s25, v4
	s_mov_b64 s[4:5], -1
                                        ; implicit-def: $sgpr10
	s_and_saveexec_b64 s[8:9], vcc
; %bb.1938:                             ;   in Loop: Header=BB4_62 Depth=1
	s_mov_b32 s10, 0x7f800001
	s_xor_b64 s[4:5], exec, -1
; %bb.1939:                             ;   in Loop: Header=BB4_62 Depth=1
	s_or_b64 exec, exec, s[8:9]
	s_and_b64 s[4:5], s[4:5], exec
                                        ; implicit-def: $vgpr4
	s_or_saveexec_b64 s[6:7], s[6:7]
	v_mov_b32_e32 v93, s10
	s_xor_b64 exec, exec, s[6:7]
	s_cbranch_execz .LBB4_916
.LBB4_1940:                             ;   in Loop: Header=BB4_62 Depth=1
	v_cmp_ne_u16_e32 vcc, 0, v4
	s_andn2_b64 s[4:5], s[4:5], exec
	s_and_b64 s[8:9], vcc, exec
	v_mov_b32_e32 v93, 0
	s_or_b64 s[4:5], s[4:5], s[8:9]
	s_or_b64 exec, exec, s[6:7]
	s_and_saveexec_b64 s[6:7], s[4:5]
	s_cbranch_execnz .LBB4_917
	s_branch .LBB4_918
.LBB4_1941:                             ;   in Loop: Header=BB4_62 Depth=1
	v_cmp_eq_u16_e32 vcc, s25, v4
	s_mov_b64 s[4:5], -1
                                        ; implicit-def: $sgpr10
	s_and_saveexec_b64 s[8:9], vcc
; %bb.1942:                             ;   in Loop: Header=BB4_62 Depth=1
	s_mov_b32 s10, 0x7f800001
	s_xor_b64 s[4:5], exec, -1
; %bb.1943:                             ;   in Loop: Header=BB4_62 Depth=1
	s_or_b64 exec, exec, s[8:9]
	s_and_b64 s[4:5], s[4:5], exec
	s_or_saveexec_b64 s[6:7], s[6:7]
	v_mov_b32_e32 v105, s10
	s_xor_b64 exec, exec, s[6:7]
	s_cbranch_execz .LBB4_920
.LBB4_1944:                             ;   in Loop: Header=BB4_62 Depth=1
	v_cmp_ne_u16_e32 vcc, 0, v4
	s_andn2_b64 s[4:5], s[4:5], exec
	s_and_b64 s[8:9], vcc, exec
	v_mov_b32_e32 v105, 0
	s_or_b64 s[4:5], s[4:5], s[8:9]
	s_or_b64 exec, exec, s[6:7]
	s_and_saveexec_b64 s[6:7], s[4:5]
	s_cbranch_execnz .LBB4_921
	s_branch .LBB4_922
.LBB4_1945:                             ;   in Loop: Header=BB4_62 Depth=1
	v_cmp_eq_u16_sdwa s[12:13], v98, s25 src0_sel:BYTE_0 src1_sel:DWORD
	s_mov_b64 s[4:5], -1
                                        ; implicit-def: $sgpr10
	s_and_saveexec_b64 s[8:9], s[12:13]
; %bb.1946:                             ;   in Loop: Header=BB4_62 Depth=1
	s_mov_b32 s10, 0x7f800001
	s_xor_b64 s[4:5], exec, -1
; %bb.1947:                             ;   in Loop: Header=BB4_62 Depth=1
	s_or_b64 exec, exec, s[8:9]
	s_and_b64 s[4:5], s[4:5], exec
	s_or_saveexec_b64 s[6:7], s[6:7]
	v_mov_b32_e32 v97, s10
	s_xor_b64 exec, exec, s[6:7]
	s_cbranch_execz .LBB4_924
.LBB4_1948:                             ;   in Loop: Header=BB4_62 Depth=1
	v_cmp_ne_u16_sdwa s[8:9], v98, v62 src0_sel:BYTE_0 src1_sel:DWORD
	s_andn2_b64 s[4:5], s[4:5], exec
	s_and_b64 s[8:9], s[8:9], exec
	v_mov_b32_e32 v97, 0
	s_or_b64 s[4:5], s[4:5], s[8:9]
	s_or_b64 exec, exec, s[6:7]
	s_and_saveexec_b64 s[6:7], s[4:5]
	s_cbranch_execnz .LBB4_925
	s_branch .LBB4_926
.LBB4_1949:                             ;   in Loop: Header=BB4_62 Depth=1
	v_cmp_eq_u16_sdwa s[12:13], v98, s25 src0_sel:BYTE_1 src1_sel:DWORD
	s_mov_b64 s[4:5], -1
                                        ; implicit-def: $sgpr10
	s_and_saveexec_b64 s[8:9], s[12:13]
; %bb.1950:                             ;   in Loop: Header=BB4_62 Depth=1
	s_mov_b32 s10, 0x7f800001
	s_xor_b64 s[4:5], exec, -1
; %bb.1951:                             ;   in Loop: Header=BB4_62 Depth=1
	s_or_b64 exec, exec, s[8:9]
	s_and_b64 s[4:5], s[4:5], exec
	s_or_saveexec_b64 s[6:7], s[6:7]
	v_mov_b32_e32 v106, s10
	s_xor_b64 exec, exec, s[6:7]
	s_cbranch_execz .LBB4_928
.LBB4_1952:                             ;   in Loop: Header=BB4_62 Depth=1
	v_cmp_ne_u16_sdwa s[8:9], v98, v62 src0_sel:BYTE_1 src1_sel:DWORD
	s_andn2_b64 s[4:5], s[4:5], exec
	s_and_b64 s[8:9], s[8:9], exec
	v_mov_b32_e32 v106, 0
	s_or_b64 s[4:5], s[4:5], s[8:9]
	s_or_b64 exec, exec, s[6:7]
	s_and_saveexec_b64 s[6:7], s[4:5]
	s_cbranch_execnz .LBB4_929
	s_branch .LBB4_930
.LBB4_1953:                             ;   in Loop: Header=BB4_62 Depth=1
	v_cmp_eq_u16_e32 vcc, s25, v4
	s_mov_b64 s[4:5], -1
                                        ; implicit-def: $sgpr10
	s_and_saveexec_b64 s[8:9], vcc
; %bb.1954:                             ;   in Loop: Header=BB4_62 Depth=1
	s_mov_b32 s10, 0x7f800001
	s_xor_b64 s[4:5], exec, -1
; %bb.1955:                             ;   in Loop: Header=BB4_62 Depth=1
	s_or_b64 exec, exec, s[8:9]
	s_and_b64 s[4:5], s[4:5], exec
                                        ; implicit-def: $vgpr4
	s_or_saveexec_b64 s[6:7], s[6:7]
	v_mov_b32_e32 v107, s10
	s_xor_b64 exec, exec, s[6:7]
	s_cbranch_execz .LBB4_932
.LBB4_1956:                             ;   in Loop: Header=BB4_62 Depth=1
	v_cmp_ne_u16_e32 vcc, 0, v4
	s_andn2_b64 s[4:5], s[4:5], exec
	s_and_b64 s[8:9], vcc, exec
	v_mov_b32_e32 v107, 0
	s_or_b64 s[4:5], s[4:5], s[8:9]
	s_or_b64 exec, exec, s[6:7]
	s_and_saveexec_b64 s[6:7], s[4:5]
	s_cbranch_execnz .LBB4_933
	s_branch .LBB4_934
.LBB4_1957:                             ;   in Loop: Header=BB4_62 Depth=1
	v_cmp_eq_u16_e32 vcc, s25, v5
	s_mov_b64 s[4:5], -1
                                        ; implicit-def: $sgpr10
	s_and_saveexec_b64 s[8:9], vcc
; %bb.1958:                             ;   in Loop: Header=BB4_62 Depth=1
	s_mov_b32 s10, 0x7f800001
	s_xor_b64 s[4:5], exec, -1
; %bb.1959:                             ;   in Loop: Header=BB4_62 Depth=1
	s_or_b64 exec, exec, s[8:9]
	s_and_b64 s[4:5], s[4:5], exec
	s_or_saveexec_b64 s[6:7], s[6:7]
	v_mov_b32_e32 v4, s10
	s_xor_b64 exec, exec, s[6:7]
	s_cbranch_execz .LBB4_936
.LBB4_1960:                             ;   in Loop: Header=BB4_62 Depth=1
	v_cmp_ne_u16_e32 vcc, 0, v5
	s_andn2_b64 s[4:5], s[4:5], exec
	s_and_b64 s[8:9], vcc, exec
	v_mov_b32_e32 v4, 0
	s_or_b64 s[4:5], s[4:5], s[8:9]
	s_or_b64 exec, exec, s[6:7]
	s_and_saveexec_b64 s[6:7], s[4:5]
	s_cbranch_execnz .LBB4_937
	s_branch .LBB4_938
.LBB4_1961:                             ;   in Loop: Header=BB4_62 Depth=1
	v_cmp_eq_u16_sdwa s[12:13], v99, s25 src0_sel:BYTE_0 src1_sel:DWORD
	s_mov_b64 s[4:5], -1
                                        ; implicit-def: $sgpr10
	s_and_saveexec_b64 s[8:9], s[12:13]
; %bb.1962:                             ;   in Loop: Header=BB4_62 Depth=1
	s_mov_b32 s10, 0x7f800001
	s_xor_b64 s[4:5], exec, -1
; %bb.1963:                             ;   in Loop: Header=BB4_62 Depth=1
	s_or_b64 exec, exec, s[8:9]
	s_and_b64 s[4:5], s[4:5], exec
	s_or_saveexec_b64 s[6:7], s[6:7]
	v_mov_b32_e32 v5, s10
	s_xor_b64 exec, exec, s[6:7]
	s_cbranch_execz .LBB4_940
.LBB4_1964:                             ;   in Loop: Header=BB4_62 Depth=1
	v_cmp_ne_u16_sdwa s[8:9], v99, v62 src0_sel:BYTE_0 src1_sel:DWORD
	s_andn2_b64 s[4:5], s[4:5], exec
	s_and_b64 s[8:9], s[8:9], exec
	v_mov_b32_e32 v5, 0
	s_or_b64 s[4:5], s[4:5], s[8:9]
	s_or_b64 exec, exec, s[6:7]
	s_and_saveexec_b64 s[6:7], s[4:5]
	s_cbranch_execnz .LBB4_941
	s_branch .LBB4_942
.LBB4_1965:                             ;   in Loop: Header=BB4_62 Depth=1
	v_cmp_eq_u16_sdwa s[12:13], v99, s25 src0_sel:BYTE_1 src1_sel:DWORD
	s_mov_b64 s[4:5], -1
                                        ; implicit-def: $sgpr10
	s_and_saveexec_b64 s[8:9], s[12:13]
; %bb.1966:                             ;   in Loop: Header=BB4_62 Depth=1
	s_mov_b32 s10, 0x7f800001
	s_xor_b64 s[4:5], exec, -1
; %bb.1967:                             ;   in Loop: Header=BB4_62 Depth=1
	s_or_b64 exec, exec, s[8:9]
	s_and_b64 s[4:5], s[4:5], exec
	s_or_saveexec_b64 s[6:7], s[6:7]
	v_mov_b32_e32 v6, s10
	s_xor_b64 exec, exec, s[6:7]
	s_cbranch_execz .LBB4_944
.LBB4_1968:                             ;   in Loop: Header=BB4_62 Depth=1
	v_cmp_ne_u16_sdwa s[8:9], v99, v62 src0_sel:BYTE_1 src1_sel:DWORD
	s_andn2_b64 s[4:5], s[4:5], exec
	s_and_b64 s[8:9], s[8:9], exec
	v_mov_b32_e32 v6, 0
	s_or_b64 s[4:5], s[4:5], s[8:9]
	s_or_b64 exec, exec, s[6:7]
	s_and_saveexec_b64 s[6:7], s[4:5]
	s_cbranch_execnz .LBB4_945
	s_branch .LBB4_946
.LBB4_1969:                             ;   in Loop: Header=BB4_62 Depth=1
	v_cmp_eq_u16_e32 vcc, s25, v8
	s_mov_b64 s[4:5], -1
                                        ; implicit-def: $sgpr10
	s_and_saveexec_b64 s[8:9], vcc
; %bb.1970:                             ;   in Loop: Header=BB4_62 Depth=1
	s_mov_b32 s10, 0x7f800001
	s_xor_b64 s[4:5], exec, -1
; %bb.1971:                             ;   in Loop: Header=BB4_62 Depth=1
	s_or_b64 exec, exec, s[8:9]
	s_and_b64 s[4:5], s[4:5], exec
                                        ; implicit-def: $vgpr8
	s_or_saveexec_b64 s[6:7], s[6:7]
	v_mov_b32_e32 v7, s10
	s_xor_b64 exec, exec, s[6:7]
	s_cbranch_execz .LBB4_948
.LBB4_1972:                             ;   in Loop: Header=BB4_62 Depth=1
	v_cmp_ne_u16_e32 vcc, 0, v8
	s_andn2_b64 s[4:5], s[4:5], exec
	s_and_b64 s[8:9], vcc, exec
	v_mov_b32_e32 v7, 0
	s_or_b64 s[4:5], s[4:5], s[8:9]
	s_or_b64 exec, exec, s[6:7]
	s_and_saveexec_b64 s[6:7], s[4:5]
	s_cbranch_execnz .LBB4_949
	s_branch .LBB4_950
.LBB4_1973:                             ;   in Loop: Header=BB4_62 Depth=1
	v_cmp_eq_u16_e32 vcc, s25, v98
	s_mov_b64 s[4:5], -1
                                        ; implicit-def: $sgpr10
	s_and_saveexec_b64 s[8:9], vcc
; %bb.1974:                             ;   in Loop: Header=BB4_62 Depth=1
	s_mov_b32 s10, 0x7f800001
	s_xor_b64 s[4:5], exec, -1
; %bb.1975:                             ;   in Loop: Header=BB4_62 Depth=1
	s_or_b64 exec, exec, s[8:9]
	s_and_b64 s[4:5], s[4:5], exec
	s_or_saveexec_b64 s[6:7], s[6:7]
	v_mov_b32_e32 v108, s10
	s_xor_b64 exec, exec, s[6:7]
	s_cbranch_execz .LBB4_952
.LBB4_1976:                             ;   in Loop: Header=BB4_62 Depth=1
	v_cmp_ne_u16_e32 vcc, 0, v98
	s_andn2_b64 s[4:5], s[4:5], exec
	s_and_b64 s[8:9], vcc, exec
	v_mov_b32_e32 v108, 0
	s_or_b64 s[4:5], s[4:5], s[8:9]
	s_or_b64 exec, exec, s[6:7]
	s_and_saveexec_b64 s[6:7], s[4:5]
	s_cbranch_execnz .LBB4_953
	s_branch .LBB4_954
.LBB4_1977:                             ;   in Loop: Header=BB4_62 Depth=1
	v_cmp_eq_u16_sdwa s[12:13], v96, s25 src0_sel:BYTE_0 src1_sel:DWORD
	s_mov_b64 s[4:5], -1
                                        ; implicit-def: $sgpr10
	s_and_saveexec_b64 s[8:9], s[12:13]
; %bb.1978:                             ;   in Loop: Header=BB4_62 Depth=1
	s_mov_b32 s10, 0x7f800001
	s_xor_b64 s[4:5], exec, -1
; %bb.1979:                             ;   in Loop: Header=BB4_62 Depth=1
	s_or_b64 exec, exec, s[8:9]
	s_and_b64 s[4:5], s[4:5], exec
	s_or_saveexec_b64 s[6:7], s[6:7]
	v_mov_b32_e32 v2, s10
	s_xor_b64 exec, exec, s[6:7]
	s_cbranch_execz .LBB4_956
.LBB4_1980:                             ;   in Loop: Header=BB4_62 Depth=1
	v_cmp_ne_u16_sdwa s[8:9], v96, v62 src0_sel:BYTE_0 src1_sel:DWORD
	s_andn2_b64 s[4:5], s[4:5], exec
	s_and_b64 s[8:9], s[8:9], exec
	v_mov_b32_e32 v2, 0
	s_or_b64 s[4:5], s[4:5], s[8:9]
	s_or_b64 exec, exec, s[6:7]
	s_and_saveexec_b64 s[6:7], s[4:5]
	s_cbranch_execnz .LBB4_957
	s_branch .LBB4_958
.LBB4_1981:                             ;   in Loop: Header=BB4_62 Depth=1
	v_cmp_eq_u16_sdwa s[12:13], v96, s25 src0_sel:BYTE_1 src1_sel:DWORD
	s_mov_b64 s[4:5], -1
                                        ; implicit-def: $sgpr10
	s_and_saveexec_b64 s[8:9], s[12:13]
; %bb.1982:                             ;   in Loop: Header=BB4_62 Depth=1
	s_mov_b32 s10, 0x7f800001
	s_xor_b64 s[4:5], exec, -1
; %bb.1983:                             ;   in Loop: Header=BB4_62 Depth=1
	s_or_b64 exec, exec, s[8:9]
	s_and_b64 s[4:5], s[4:5], exec
	s_or_saveexec_b64 s[6:7], s[6:7]
	v_mov_b32_e32 v3, s10
	s_xor_b64 exec, exec, s[6:7]
	s_cbranch_execz .LBB4_960
.LBB4_1984:                             ;   in Loop: Header=BB4_62 Depth=1
	v_cmp_ne_u16_sdwa s[8:9], v96, v62 src0_sel:BYTE_1 src1_sel:DWORD
	s_andn2_b64 s[4:5], s[4:5], exec
	s_and_b64 s[8:9], s[8:9], exec
	v_mov_b32_e32 v3, 0
	s_or_b64 s[4:5], s[4:5], s[8:9]
	s_or_b64 exec, exec, s[6:7]
	s_and_saveexec_b64 s[6:7], s[4:5]
	s_cbranch_execnz .LBB4_961
	s_branch .LBB4_962
.LBB4_1985:                             ;   in Loop: Header=BB4_62 Depth=1
	v_cmp_eq_u16_e32 vcc, s25, v4
	s_mov_b64 s[4:5], -1
                                        ; implicit-def: $sgpr10
	s_and_saveexec_b64 s[8:9], vcc
; %bb.1986:                             ;   in Loop: Header=BB4_62 Depth=1
	s_mov_b32 s10, 0x7f800001
	s_xor_b64 s[4:5], exec, -1
; %bb.1987:                             ;   in Loop: Header=BB4_62 Depth=1
	s_or_b64 exec, exec, s[8:9]
	s_and_b64 s[4:5], s[4:5], exec
                                        ; implicit-def: $vgpr4
	s_or_saveexec_b64 s[6:7], s[6:7]
	v_mov_b32_e32 v61, s10
	s_xor_b64 exec, exec, s[6:7]
	s_cbranch_execz .LBB4_964
.LBB4_1988:                             ;   in Loop: Header=BB4_62 Depth=1
	v_cmp_ne_u16_e32 vcc, 0, v4
	s_andn2_b64 s[4:5], s[4:5], exec
	s_and_b64 s[8:9], vcc, exec
	v_mov_b32_e32 v61, 0
	s_or_b64 s[4:5], s[4:5], s[8:9]
	s_or_b64 exec, exec, s[6:7]
	s_and_saveexec_b64 s[6:7], s[4:5]
	s_cbranch_execnz .LBB4_965
	s_branch .LBB4_966
.LBB4_1989:                             ;   in Loop: Header=BB4_62 Depth=1
	v_cmp_eq_u16_e32 vcc, s25, v4
	s_mov_b64 s[4:5], -1
                                        ; implicit-def: $sgpr10
	s_and_saveexec_b64 s[8:9], vcc
; %bb.1990:                             ;   in Loop: Header=BB4_62 Depth=1
	s_mov_b32 s10, 0x7f800001
	s_xor_b64 s[4:5], exec, -1
; %bb.1991:                             ;   in Loop: Header=BB4_62 Depth=1
	s_or_b64 exec, exec, s[8:9]
	s_and_b64 s[4:5], s[4:5], exec
	s_or_saveexec_b64 s[6:7], s[6:7]
	v_mov_b32_e32 v79, s10
	s_xor_b64 exec, exec, s[6:7]
	s_cbranch_execz .LBB4_968
.LBB4_1992:                             ;   in Loop: Header=BB4_62 Depth=1
	v_cmp_ne_u16_e32 vcc, 0, v4
	s_andn2_b64 s[4:5], s[4:5], exec
	s_and_b64 s[8:9], vcc, exec
	v_mov_b32_e32 v79, 0
	s_or_b64 s[4:5], s[4:5], s[8:9]
	s_or_b64 exec, exec, s[6:7]
	s_and_saveexec_b64 s[6:7], s[4:5]
	s_cbranch_execnz .LBB4_969
	s_branch .LBB4_970
.LBB4_1993:                             ;   in Loop: Header=BB4_62 Depth=1
	v_cmp_eq_u16_sdwa s[12:13], v97, s25 src0_sel:BYTE_0 src1_sel:DWORD
	s_mov_b64 s[4:5], -1
                                        ; implicit-def: $sgpr10
	s_and_saveexec_b64 s[8:9], s[12:13]
; %bb.1994:                             ;   in Loop: Header=BB4_62 Depth=1
	s_mov_b32 s10, 0x7f800001
	s_xor_b64 s[4:5], exec, -1
; %bb.1995:                             ;   in Loop: Header=BB4_62 Depth=1
	s_or_b64 exec, exec, s[8:9]
	s_and_b64 s[4:5], s[4:5], exec
	s_or_saveexec_b64 s[6:7], s[6:7]
	v_mov_b32_e32 v96, s10
	s_xor_b64 exec, exec, s[6:7]
	s_cbranch_execz .LBB4_972
.LBB4_1996:                             ;   in Loop: Header=BB4_62 Depth=1
	v_cmp_ne_u16_sdwa s[8:9], v97, v62 src0_sel:BYTE_0 src1_sel:DWORD
	s_andn2_b64 s[4:5], s[4:5], exec
	s_and_b64 s[8:9], s[8:9], exec
	v_mov_b32_e32 v96, 0
	s_or_b64 s[4:5], s[4:5], s[8:9]
	s_or_b64 exec, exec, s[6:7]
	s_and_saveexec_b64 s[6:7], s[4:5]
	s_cbranch_execnz .LBB4_973
	s_branch .LBB4_974
.LBB4_1997:                             ;   in Loop: Header=BB4_62 Depth=1
	v_cmp_eq_u16_sdwa s[12:13], v97, s25 src0_sel:BYTE_1 src1_sel:DWORD
	s_mov_b64 s[4:5], -1
                                        ; implicit-def: $sgpr10
	s_and_saveexec_b64 s[8:9], s[12:13]
; %bb.1998:                             ;   in Loop: Header=BB4_62 Depth=1
	s_mov_b32 s10, 0x7f800001
	s_xor_b64 s[4:5], exec, -1
; %bb.1999:                             ;   in Loop: Header=BB4_62 Depth=1
	s_or_b64 exec, exec, s[8:9]
	s_and_b64 s[4:5], s[4:5], exec
	s_or_saveexec_b64 s[6:7], s[6:7]
	v_mov_b32_e32 v104, s10
	s_xor_b64 exec, exec, s[6:7]
	s_cbranch_execz .LBB4_976
.LBB4_2000:                             ;   in Loop: Header=BB4_62 Depth=1
	v_cmp_ne_u16_sdwa s[8:9], v97, v62 src0_sel:BYTE_1 src1_sel:DWORD
	s_andn2_b64 s[4:5], s[4:5], exec
	s_and_b64 s[8:9], s[8:9], exec
	v_mov_b32_e32 v104, 0
	s_or_b64 s[4:5], s[4:5], s[8:9]
	s_or_b64 exec, exec, s[6:7]
	s_and_saveexec_b64 s[6:7], s[4:5]
	s_cbranch_execnz .LBB4_977
	s_branch .LBB4_978
.LBB4_2001:                             ;   in Loop: Header=BB4_62 Depth=1
	v_cmp_eq_u16_e32 vcc, s25, v4
	s_mov_b64 s[4:5], -1
                                        ; implicit-def: $sgpr10
	s_and_saveexec_b64 s[8:9], vcc
; %bb.2002:                             ;   in Loop: Header=BB4_62 Depth=1
	s_mov_b32 s10, 0x7f800001
	s_xor_b64 s[4:5], exec, -1
; %bb.2003:                             ;   in Loop: Header=BB4_62 Depth=1
	s_or_b64 exec, exec, s[8:9]
	s_and_b64 s[4:5], s[4:5], exec
                                        ; implicit-def: $vgpr4
	s_or_saveexec_b64 s[6:7], s[6:7]
	v_mov_b32_e32 v105, s10
	s_xor_b64 exec, exec, s[6:7]
	s_cbranch_execz .LBB4_980
.LBB4_2004:                             ;   in Loop: Header=BB4_62 Depth=1
	v_cmp_ne_u16_e32 vcc, 0, v4
	s_andn2_b64 s[4:5], s[4:5], exec
	s_and_b64 s[8:9], vcc, exec
	v_mov_b32_e32 v105, 0
	s_or_b64 s[4:5], s[4:5], s[8:9]
	s_or_b64 exec, exec, s[6:7]
	s_and_saveexec_b64 s[6:7], s[4:5]
	s_cbranch_execnz .LBB4_981
	s_branch .LBB4_982
.LBB4_2005:                             ;   in Loop: Header=BB4_62 Depth=1
	v_cmp_eq_u16_e32 vcc, s25, v4
	s_mov_b64 s[4:5], -1
                                        ; implicit-def: $sgpr10
	s_and_saveexec_b64 s[8:9], vcc
; %bb.2006:                             ;   in Loop: Header=BB4_62 Depth=1
	s_mov_b32 s10, 0x7f800001
	s_xor_b64 s[4:5], exec, -1
; %bb.2007:                             ;   in Loop: Header=BB4_62 Depth=1
	s_or_b64 exec, exec, s[8:9]
	s_and_b64 s[4:5], s[4:5], exec
	s_or_saveexec_b64 s[6:7], s[6:7]
	v_mov_b32_e32 v107, s10
	s_xor_b64 exec, exec, s[6:7]
	s_cbranch_execz .LBB4_984
.LBB4_2008:                             ;   in Loop: Header=BB4_62 Depth=1
	v_cmp_ne_u16_e32 vcc, 0, v4
	s_andn2_b64 s[4:5], s[4:5], exec
	s_and_b64 s[8:9], vcc, exec
	v_mov_b32_e32 v107, 0
	s_or_b64 s[4:5], s[4:5], s[8:9]
	s_or_b64 exec, exec, s[6:7]
	s_and_saveexec_b64 s[6:7], s[4:5]
	s_cbranch_execnz .LBB4_985
	s_branch .LBB4_986
.LBB4_2009:                             ;   in Loop: Header=BB4_62 Depth=1
	v_cmp_eq_u16_sdwa s[12:13], v98, s25 src0_sel:BYTE_0 src1_sel:DWORD
	s_mov_b64 s[4:5], -1
                                        ; implicit-def: $sgpr10
	s_and_saveexec_b64 s[8:9], s[12:13]
; %bb.2010:                             ;   in Loop: Header=BB4_62 Depth=1
	s_mov_b32 s10, 0x7f800001
	s_xor_b64 s[4:5], exec, -1
; %bb.2011:                             ;   in Loop: Header=BB4_62 Depth=1
	s_or_b64 exec, exec, s[8:9]
	s_and_b64 s[4:5], s[4:5], exec
	s_or_saveexec_b64 s[6:7], s[6:7]
	v_mov_b32_e32 v97, s10
	s_xor_b64 exec, exec, s[6:7]
	s_cbranch_execz .LBB4_988
.LBB4_2012:                             ;   in Loop: Header=BB4_62 Depth=1
	v_cmp_ne_u16_sdwa s[8:9], v98, v62 src0_sel:BYTE_0 src1_sel:DWORD
	s_andn2_b64 s[4:5], s[4:5], exec
	s_and_b64 s[8:9], s[8:9], exec
	v_mov_b32_e32 v97, 0
	s_or_b64 s[4:5], s[4:5], s[8:9]
	s_or_b64 exec, exec, s[6:7]
	s_and_saveexec_b64 s[6:7], s[4:5]
	s_cbranch_execnz .LBB4_989
	s_branch .LBB4_990
.LBB4_2013:                             ;   in Loop: Header=BB4_62 Depth=1
	v_cmp_eq_u16_sdwa s[12:13], v98, s25 src0_sel:BYTE_1 src1_sel:DWORD
	s_mov_b64 s[4:5], -1
                                        ; implicit-def: $sgpr10
	s_and_saveexec_b64 s[8:9], s[12:13]
; %bb.2014:                             ;   in Loop: Header=BB4_62 Depth=1
	s_mov_b32 s10, 0x7f800001
	s_xor_b64 s[4:5], exec, -1
; %bb.2015:                             ;   in Loop: Header=BB4_62 Depth=1
	s_or_b64 exec, exec, s[8:9]
	s_and_b64 s[4:5], s[4:5], exec
	s_or_saveexec_b64 s[6:7], s[6:7]
	v_mov_b32_e32 v110, s10
	s_xor_b64 exec, exec, s[6:7]
	s_cbranch_execz .LBB4_992
.LBB4_2016:                             ;   in Loop: Header=BB4_62 Depth=1
	v_cmp_ne_u16_sdwa s[8:9], v98, v62 src0_sel:BYTE_1 src1_sel:DWORD
	s_andn2_b64 s[4:5], s[4:5], exec
	s_and_b64 s[8:9], s[8:9], exec
	v_mov_b32_e32 v110, 0
	s_or_b64 s[4:5], s[4:5], s[8:9]
	s_or_b64 exec, exec, s[6:7]
	s_and_saveexec_b64 s[6:7], s[4:5]
	s_cbranch_execnz .LBB4_993
	s_branch .LBB4_994
.LBB4_2017:                             ;   in Loop: Header=BB4_62 Depth=1
	v_cmp_eq_u16_e32 vcc, s25, v4
	s_mov_b64 s[4:5], -1
                                        ; implicit-def: $sgpr10
	s_and_saveexec_b64 s[8:9], vcc
; %bb.2018:                             ;   in Loop: Header=BB4_62 Depth=1
	s_mov_b32 s10, 0x7f800001
	s_xor_b64 s[4:5], exec, -1
; %bb.2019:                             ;   in Loop: Header=BB4_62 Depth=1
	s_or_b64 exec, exec, s[8:9]
	s_and_b64 s[4:5], s[4:5], exec
                                        ; implicit-def: $vgpr4
	s_or_saveexec_b64 s[6:7], s[6:7]
	v_mov_b32_e32 v111, s10
	s_xor_b64 exec, exec, s[6:7]
	s_cbranch_execz .LBB4_996
.LBB4_2020:                             ;   in Loop: Header=BB4_62 Depth=1
	v_cmp_ne_u16_e32 vcc, 0, v4
	s_andn2_b64 s[4:5], s[4:5], exec
	s_and_b64 s[8:9], vcc, exec
	v_mov_b32_e32 v111, 0
	s_or_b64 s[4:5], s[4:5], s[8:9]
	s_or_b64 exec, exec, s[6:7]
	s_and_saveexec_b64 s[6:7], s[4:5]
	s_cbranch_execnz .LBB4_997
	s_branch .LBB4_998
.LBB4_2021:                             ;   in Loop: Header=BB4_62 Depth=1
	v_cmp_eq_u16_e32 vcc, s25, v5
	s_mov_b64 s[4:5], -1
                                        ; implicit-def: $sgpr10
	s_and_saveexec_b64 s[8:9], vcc
; %bb.2022:                             ;   in Loop: Header=BB4_62 Depth=1
	s_mov_b32 s10, 0x7f800001
	s_xor_b64 s[4:5], exec, -1
; %bb.2023:                             ;   in Loop: Header=BB4_62 Depth=1
	s_or_b64 exec, exec, s[8:9]
	s_and_b64 s[4:5], s[4:5], exec
	s_or_saveexec_b64 s[6:7], s[6:7]
	v_mov_b32_e32 v4, s10
	s_xor_b64 exec, exec, s[6:7]
	s_cbranch_execz .LBB4_1000
.LBB4_2024:                             ;   in Loop: Header=BB4_62 Depth=1
	v_cmp_ne_u16_e32 vcc, 0, v5
	s_andn2_b64 s[4:5], s[4:5], exec
	s_and_b64 s[8:9], vcc, exec
	v_mov_b32_e32 v4, 0
	s_or_b64 s[4:5], s[4:5], s[8:9]
	s_or_b64 exec, exec, s[6:7]
	s_and_saveexec_b64 s[6:7], s[4:5]
	s_cbranch_execnz .LBB4_1001
	s_branch .LBB4_1002
.LBB4_2025:                             ;   in Loop: Header=BB4_62 Depth=1
	v_cmp_eq_u16_sdwa s[12:13], v99, s25 src0_sel:BYTE_0 src1_sel:DWORD
	s_mov_b64 s[4:5], -1
                                        ; implicit-def: $sgpr10
	s_and_saveexec_b64 s[8:9], s[12:13]
; %bb.2026:                             ;   in Loop: Header=BB4_62 Depth=1
	s_mov_b32 s10, 0x7f800001
	s_xor_b64 s[4:5], exec, -1
; %bb.2027:                             ;   in Loop: Header=BB4_62 Depth=1
	s_or_b64 exec, exec, s[8:9]
	s_and_b64 s[4:5], s[4:5], exec
	s_or_saveexec_b64 s[6:7], s[6:7]
	v_mov_b32_e32 v5, s10
	s_xor_b64 exec, exec, s[6:7]
	s_cbranch_execz .LBB4_1004
.LBB4_2028:                             ;   in Loop: Header=BB4_62 Depth=1
	v_cmp_ne_u16_sdwa s[8:9], v99, v62 src0_sel:BYTE_0 src1_sel:DWORD
	s_andn2_b64 s[4:5], s[4:5], exec
	s_and_b64 s[8:9], s[8:9], exec
	v_mov_b32_e32 v5, 0
	s_or_b64 s[4:5], s[4:5], s[8:9]
	s_or_b64 exec, exec, s[6:7]
	s_and_saveexec_b64 s[6:7], s[4:5]
	s_cbranch_execnz .LBB4_1005
	s_branch .LBB4_1006
.LBB4_2029:                             ;   in Loop: Header=BB4_62 Depth=1
	v_cmp_eq_u16_sdwa s[12:13], v99, s25 src0_sel:BYTE_1 src1_sel:DWORD
	s_mov_b64 s[4:5], -1
                                        ; implicit-def: $sgpr10
	s_and_saveexec_b64 s[8:9], s[12:13]
; %bb.2030:                             ;   in Loop: Header=BB4_62 Depth=1
	s_mov_b32 s10, 0x7f800001
	s_xor_b64 s[4:5], exec, -1
; %bb.2031:                             ;   in Loop: Header=BB4_62 Depth=1
	s_or_b64 exec, exec, s[8:9]
	s_and_b64 s[4:5], s[4:5], exec
	s_or_saveexec_b64 s[6:7], s[6:7]
	v_mov_b32_e32 v6, s10
	s_xor_b64 exec, exec, s[6:7]
	s_cbranch_execz .LBB4_1008
.LBB4_2032:                             ;   in Loop: Header=BB4_62 Depth=1
	v_cmp_ne_u16_sdwa s[8:9], v99, v62 src0_sel:BYTE_1 src1_sel:DWORD
	s_andn2_b64 s[4:5], s[4:5], exec
	s_and_b64 s[8:9], s[8:9], exec
	v_mov_b32_e32 v6, 0
	s_or_b64 s[4:5], s[4:5], s[8:9]
	s_or_b64 exec, exec, s[6:7]
	s_and_saveexec_b64 s[6:7], s[4:5]
	s_cbranch_execnz .LBB4_1009
	s_branch .LBB4_1010
.LBB4_2033:                             ;   in Loop: Header=BB4_62 Depth=1
	v_cmp_eq_u16_e32 vcc, s25, v8
	s_mov_b64 s[4:5], -1
                                        ; implicit-def: $sgpr10
	s_and_saveexec_b64 s[8:9], vcc
; %bb.2034:                             ;   in Loop: Header=BB4_62 Depth=1
	s_mov_b32 s10, 0x7f800001
	s_xor_b64 s[4:5], exec, -1
; %bb.2035:                             ;   in Loop: Header=BB4_62 Depth=1
	s_or_b64 exec, exec, s[8:9]
	s_and_b64 s[4:5], s[4:5], exec
                                        ; implicit-def: $vgpr8
	s_or_saveexec_b64 s[6:7], s[6:7]
	v_mov_b32_e32 v7, s10
	s_xor_b64 exec, exec, s[6:7]
	s_cbranch_execz .LBB4_1012
.LBB4_2036:                             ;   in Loop: Header=BB4_62 Depth=1
	v_cmp_ne_u16_e32 vcc, 0, v8
	s_andn2_b64 s[4:5], s[4:5], exec
	s_and_b64 s[8:9], vcc, exec
	v_mov_b32_e32 v7, 0
	s_or_b64 s[4:5], s[4:5], s[8:9]
	s_or_b64 exec, exec, s[6:7]
	s_and_saveexec_b64 s[6:7], s[4:5]
	s_cbranch_execnz .LBB4_1013
	s_branch .LBB4_1014
.LBB4_2037:                             ;   in Loop: Header=BB4_62 Depth=1
	v_cmp_eq_u16_e32 vcc, s25, v98
	s_mov_b64 s[4:5], -1
                                        ; implicit-def: $sgpr10
	s_and_saveexec_b64 s[8:9], vcc
; %bb.2038:                             ;   in Loop: Header=BB4_62 Depth=1
	s_mov_b32 s10, 0x7f800001
	s_xor_b64 s[4:5], exec, -1
; %bb.2039:                             ;   in Loop: Header=BB4_62 Depth=1
	s_or_b64 exec, exec, s[8:9]
	s_and_b64 s[4:5], s[4:5], exec
	s_or_saveexec_b64 s[6:7], s[6:7]
	v_mov_b32_e32 v120, s10
	s_xor_b64 exec, exec, s[6:7]
	s_cbranch_execz .LBB4_1016
.LBB4_2040:                             ;   in Loop: Header=BB4_62 Depth=1
	v_cmp_ne_u16_e32 vcc, 0, v98
	s_andn2_b64 s[4:5], s[4:5], exec
	s_and_b64 s[8:9], vcc, exec
	v_mov_b32_e32 v120, 0
	s_or_b64 s[4:5], s[4:5], s[8:9]
	s_or_b64 exec, exec, s[6:7]
	s_and_saveexec_b64 s[6:7], s[4:5]
	s_cbranch_execnz .LBB4_1017
	s_branch .LBB4_1018
.LBB4_2041:                             ;   in Loop: Header=BB4_62 Depth=1
	v_cmp_eq_u16_sdwa s[12:13], v96, s25 src0_sel:BYTE_0 src1_sel:DWORD
	s_mov_b64 s[4:5], -1
                                        ; implicit-def: $sgpr10
	s_and_saveexec_b64 s[8:9], s[12:13]
; %bb.2042:                             ;   in Loop: Header=BB4_62 Depth=1
	s_mov_b32 s10, 0x7f800001
	s_xor_b64 s[4:5], exec, -1
; %bb.2043:                             ;   in Loop: Header=BB4_62 Depth=1
	s_or_b64 exec, exec, s[8:9]
	s_and_b64 s[4:5], s[4:5], exec
	s_or_saveexec_b64 s[6:7], s[6:7]
	v_mov_b32_e32 v2, s10
	s_xor_b64 exec, exec, s[6:7]
	s_cbranch_execz .LBB4_1020
.LBB4_2044:                             ;   in Loop: Header=BB4_62 Depth=1
	v_cmp_ne_u16_sdwa s[8:9], v96, v62 src0_sel:BYTE_0 src1_sel:DWORD
	s_andn2_b64 s[4:5], s[4:5], exec
	s_and_b64 s[8:9], s[8:9], exec
	v_mov_b32_e32 v2, 0
	s_or_b64 s[4:5], s[4:5], s[8:9]
	s_or_b64 exec, exec, s[6:7]
	s_and_saveexec_b64 s[6:7], s[4:5]
	s_cbranch_execnz .LBB4_1021
	s_branch .LBB4_1022
.LBB4_2045:                             ;   in Loop: Header=BB4_62 Depth=1
	v_cmp_eq_u16_sdwa s[12:13], v96, s25 src0_sel:BYTE_1 src1_sel:DWORD
	s_mov_b64 s[4:5], -1
                                        ; implicit-def: $sgpr10
	s_and_saveexec_b64 s[8:9], s[12:13]
; %bb.2046:                             ;   in Loop: Header=BB4_62 Depth=1
	s_mov_b32 s10, 0x7f800001
	s_xor_b64 s[4:5], exec, -1
; %bb.2047:                             ;   in Loop: Header=BB4_62 Depth=1
	s_or_b64 exec, exec, s[8:9]
	s_and_b64 s[4:5], s[4:5], exec
	s_or_saveexec_b64 s[6:7], s[6:7]
	v_mov_b32_e32 v3, s10
	s_xor_b64 exec, exec, s[6:7]
	s_cbranch_execz .LBB4_1024
.LBB4_2048:                             ;   in Loop: Header=BB4_62 Depth=1
	v_cmp_ne_u16_sdwa s[8:9], v96, v62 src0_sel:BYTE_1 src1_sel:DWORD
	s_andn2_b64 s[4:5], s[4:5], exec
	s_and_b64 s[8:9], s[8:9], exec
	v_mov_b32_e32 v3, 0
	s_or_b64 s[4:5], s[4:5], s[8:9]
	s_or_b64 exec, exec, s[6:7]
	s_and_saveexec_b64 s[6:7], s[4:5]
	s_cbranch_execnz .LBB4_1025
	s_branch .LBB4_1026
.LBB4_2049:                             ;   in Loop: Header=BB4_62 Depth=1
	v_cmp_eq_u16_e32 vcc, s25, v4
	s_mov_b64 s[4:5], -1
                                        ; implicit-def: $sgpr10
	s_and_saveexec_b64 s[8:9], vcc
; %bb.2050:                             ;   in Loop: Header=BB4_62 Depth=1
	s_mov_b32 s10, 0x7f800001
	s_xor_b64 s[4:5], exec, -1
; %bb.2051:                             ;   in Loop: Header=BB4_62 Depth=1
	s_or_b64 exec, exec, s[8:9]
	s_and_b64 s[4:5], s[4:5], exec
                                        ; implicit-def: $vgpr4
	s_or_saveexec_b64 s[6:7], s[6:7]
	v_mov_b32_e32 v115, s10
	s_xor_b64 exec, exec, s[6:7]
	s_cbranch_execz .LBB4_1028
.LBB4_2052:                             ;   in Loop: Header=BB4_62 Depth=1
	v_cmp_ne_u16_e32 vcc, 0, v4
	s_andn2_b64 s[4:5], s[4:5], exec
	s_and_b64 s[8:9], vcc, exec
	v_mov_b32_e32 v115, 0
	s_or_b64 s[4:5], s[4:5], s[8:9]
	s_or_b64 exec, exec, s[6:7]
	s_and_saveexec_b64 s[6:7], s[4:5]
	s_cbranch_execnz .LBB4_1029
	s_branch .LBB4_1030
.LBB4_2053:                             ;   in Loop: Header=BB4_62 Depth=1
	v_cmp_eq_u16_e32 vcc, s25, v4
	s_mov_b64 s[4:5], -1
                                        ; implicit-def: $sgpr10
	s_and_saveexec_b64 s[8:9], vcc
; %bb.2054:                             ;   in Loop: Header=BB4_62 Depth=1
	s_mov_b32 s10, 0x7f800001
	s_xor_b64 s[4:5], exec, -1
; %bb.2055:                             ;   in Loop: Header=BB4_62 Depth=1
	s_or_b64 exec, exec, s[8:9]
	s_and_b64 s[4:5], s[4:5], exec
	s_or_saveexec_b64 s[6:7], s[6:7]
	v_mov_b32_e32 v61, s10
	s_xor_b64 exec, exec, s[6:7]
	s_cbranch_execz .LBB4_1032
.LBB4_2056:                             ;   in Loop: Header=BB4_62 Depth=1
	v_cmp_ne_u16_e32 vcc, 0, v4
	s_andn2_b64 s[4:5], s[4:5], exec
	s_and_b64 s[8:9], vcc, exec
	v_mov_b32_e32 v61, 0
	s_or_b64 s[4:5], s[4:5], s[8:9]
	s_or_b64 exec, exec, s[6:7]
	s_and_saveexec_b64 s[6:7], s[4:5]
	s_cbranch_execnz .LBB4_1033
	s_branch .LBB4_1034
.LBB4_2057:                             ;   in Loop: Header=BB4_62 Depth=1
	v_cmp_eq_u16_sdwa s[12:13], v97, s25 src0_sel:BYTE_0 src1_sel:DWORD
	s_mov_b64 s[4:5], -1
                                        ; implicit-def: $sgpr10
	s_and_saveexec_b64 s[8:9], s[12:13]
; %bb.2058:                             ;   in Loop: Header=BB4_62 Depth=1
	s_mov_b32 s10, 0x7f800001
	s_xor_b64 s[4:5], exec, -1
; %bb.2059:                             ;   in Loop: Header=BB4_62 Depth=1
	s_or_b64 exec, exec, s[8:9]
	s_and_b64 s[4:5], s[4:5], exec
	s_or_saveexec_b64 s[6:7], s[6:7]
	v_mov_b32_e32 v96, s10
	s_xor_b64 exec, exec, s[6:7]
	s_cbranch_execz .LBB4_1036
.LBB4_2060:                             ;   in Loop: Header=BB4_62 Depth=1
	v_cmp_ne_u16_sdwa s[8:9], v97, v62 src0_sel:BYTE_0 src1_sel:DWORD
	s_andn2_b64 s[4:5], s[4:5], exec
	s_and_b64 s[8:9], s[8:9], exec
	v_mov_b32_e32 v96, 0
	s_or_b64 s[4:5], s[4:5], s[8:9]
	s_or_b64 exec, exec, s[6:7]
	s_and_saveexec_b64 s[6:7], s[4:5]
	s_cbranch_execnz .LBB4_1037
	s_branch .LBB4_1038
.LBB4_2061:                             ;   in Loop: Header=BB4_62 Depth=1
	v_cmp_eq_u16_sdwa s[12:13], v97, s25 src0_sel:BYTE_1 src1_sel:DWORD
	s_mov_b64 s[4:5], -1
                                        ; implicit-def: $sgpr10
	s_and_saveexec_b64 s[8:9], s[12:13]
; %bb.2062:                             ;   in Loop: Header=BB4_62 Depth=1
	s_mov_b32 s10, 0x7f800001
	s_xor_b64 s[4:5], exec, -1
; %bb.2063:                             ;   in Loop: Header=BB4_62 Depth=1
	s_or_b64 exec, exec, s[8:9]
	s_and_b64 s[4:5], s[4:5], exec
	s_or_saveexec_b64 s[6:7], s[6:7]
	v_mov_b32_e32 v77, s10
	s_xor_b64 exec, exec, s[6:7]
	s_cbranch_execz .LBB4_1040
.LBB4_2064:                             ;   in Loop: Header=BB4_62 Depth=1
	v_cmp_ne_u16_sdwa s[8:9], v97, v62 src0_sel:BYTE_1 src1_sel:DWORD
	s_andn2_b64 s[4:5], s[4:5], exec
	s_and_b64 s[8:9], s[8:9], exec
	v_mov_b32_e32 v77, 0
	s_or_b64 s[4:5], s[4:5], s[8:9]
	s_or_b64 exec, exec, s[6:7]
	s_and_saveexec_b64 s[6:7], s[4:5]
	s_cbranch_execnz .LBB4_1041
	s_branch .LBB4_1042
.LBB4_2065:                             ;   in Loop: Header=BB4_62 Depth=1
	v_cmp_eq_u16_e32 vcc, s25, v4
	s_mov_b64 s[4:5], -1
                                        ; implicit-def: $sgpr10
	s_and_saveexec_b64 s[8:9], vcc
; %bb.2066:                             ;   in Loop: Header=BB4_62 Depth=1
	s_mov_b32 s10, 0x7f800001
	s_xor_b64 s[4:5], exec, -1
; %bb.2067:                             ;   in Loop: Header=BB4_62 Depth=1
	s_or_b64 exec, exec, s[8:9]
	s_and_b64 s[4:5], s[4:5], exec
                                        ; implicit-def: $vgpr4
	s_or_saveexec_b64 s[6:7], s[6:7]
	v_mov_b32_e32 v121, s10
	s_xor_b64 exec, exec, s[6:7]
	s_cbranch_execz .LBB4_1044
.LBB4_2068:                             ;   in Loop: Header=BB4_62 Depth=1
	v_cmp_ne_u16_e32 vcc, 0, v4
	s_andn2_b64 s[4:5], s[4:5], exec
	s_and_b64 s[8:9], vcc, exec
	v_mov_b32_e32 v121, 0
	s_or_b64 s[4:5], s[4:5], s[8:9]
	s_or_b64 exec, exec, s[6:7]
	s_and_saveexec_b64 s[6:7], s[4:5]
	s_cbranch_execnz .LBB4_1045
	s_branch .LBB4_1046
.LBB4_2069:                             ;   in Loop: Header=BB4_62 Depth=1
	v_cmp_eq_u16_e32 vcc, s25, v4
	s_mov_b64 s[4:5], -1
                                        ; implicit-def: $sgpr10
	s_and_saveexec_b64 s[8:9], vcc
; %bb.2070:                             ;   in Loop: Header=BB4_62 Depth=1
	s_mov_b32 s10, 0x7f800001
	s_xor_b64 s[4:5], exec, -1
; %bb.2071:                             ;   in Loop: Header=BB4_62 Depth=1
	s_or_b64 exec, exec, s[8:9]
	s_and_b64 s[4:5], s[4:5], exec
	s_or_saveexec_b64 s[6:7], s[6:7]
	v_mov_b32_e32 v122, s10
	s_xor_b64 exec, exec, s[6:7]
	s_cbranch_execz .LBB4_1048
.LBB4_2072:                             ;   in Loop: Header=BB4_62 Depth=1
	v_cmp_ne_u16_e32 vcc, 0, v4
	s_andn2_b64 s[4:5], s[4:5], exec
	s_and_b64 s[8:9], vcc, exec
	v_mov_b32_e32 v122, 0
	s_or_b64 s[4:5], s[4:5], s[8:9]
	s_or_b64 exec, exec, s[6:7]
	s_and_saveexec_b64 s[6:7], s[4:5]
	s_cbranch_execnz .LBB4_1049
	s_branch .LBB4_1050
.LBB4_2073:                             ;   in Loop: Header=BB4_62 Depth=1
	v_cmp_eq_u16_sdwa s[12:13], v98, s25 src0_sel:BYTE_0 src1_sel:DWORD
	s_mov_b64 s[4:5], -1
                                        ; implicit-def: $sgpr10
	s_and_saveexec_b64 s[8:9], s[12:13]
; %bb.2074:                             ;   in Loop: Header=BB4_62 Depth=1
	s_mov_b32 s10, 0x7f800001
	s_xor_b64 s[4:5], exec, -1
; %bb.2075:                             ;   in Loop: Header=BB4_62 Depth=1
	s_or_b64 exec, exec, s[8:9]
	s_and_b64 s[4:5], s[4:5], exec
	s_or_saveexec_b64 s[6:7], s[6:7]
	v_mov_b32_e32 v97, s10
	s_xor_b64 exec, exec, s[6:7]
	s_cbranch_execz .LBB4_1052
.LBB4_2076:                             ;   in Loop: Header=BB4_62 Depth=1
	v_cmp_ne_u16_sdwa s[8:9], v98, v62 src0_sel:BYTE_0 src1_sel:DWORD
	s_andn2_b64 s[4:5], s[4:5], exec
	s_and_b64 s[8:9], s[8:9], exec
	v_mov_b32_e32 v97, 0
	s_or_b64 s[4:5], s[4:5], s[8:9]
	s_or_b64 exec, exec, s[6:7]
	s_and_saveexec_b64 s[6:7], s[4:5]
	s_cbranch_execnz .LBB4_1053
	s_branch .LBB4_1054
.LBB4_2077:                             ;   in Loop: Header=BB4_62 Depth=1
	v_cmp_eq_u16_sdwa s[12:13], v98, s25 src0_sel:BYTE_1 src1_sel:DWORD
	s_mov_b64 s[4:5], -1
                                        ; implicit-def: $sgpr10
	s_and_saveexec_b64 s[8:9], s[12:13]
; %bb.2078:                             ;   in Loop: Header=BB4_62 Depth=1
	s_mov_b32 s10, 0x7f800001
	s_xor_b64 s[4:5], exec, -1
; %bb.2079:                             ;   in Loop: Header=BB4_62 Depth=1
	s_or_b64 exec, exec, s[8:9]
	s_and_b64 s[4:5], s[4:5], exec
	s_or_saveexec_b64 s[6:7], s[6:7]
	v_mov_b32_e32 v123, s10
	s_xor_b64 exec, exec, s[6:7]
	s_cbranch_execz .LBB4_1056
.LBB4_2080:                             ;   in Loop: Header=BB4_62 Depth=1
	v_cmp_ne_u16_sdwa s[8:9], v98, v62 src0_sel:BYTE_1 src1_sel:DWORD
	s_andn2_b64 s[4:5], s[4:5], exec
	s_and_b64 s[8:9], s[8:9], exec
	v_mov_b32_e32 v123, 0
	s_or_b64 s[4:5], s[4:5], s[8:9]
	s_or_b64 exec, exec, s[6:7]
	s_and_saveexec_b64 s[6:7], s[4:5]
	s_cbranch_execnz .LBB4_1057
	s_branch .LBB4_1058
.LBB4_2081:                             ;   in Loop: Header=BB4_62 Depth=1
	v_cmp_eq_u16_e32 vcc, s25, v5
	s_mov_b64 s[4:5], -1
                                        ; implicit-def: $sgpr10
	s_and_saveexec_b64 s[8:9], vcc
; %bb.2082:                             ;   in Loop: Header=BB4_62 Depth=1
	s_mov_b32 s10, 0x7f800001
	s_xor_b64 s[4:5], exec, -1
; %bb.2083:                             ;   in Loop: Header=BB4_62 Depth=1
	s_or_b64 exec, exec, s[8:9]
	s_and_b64 s[4:5], s[4:5], exec
                                        ; implicit-def: $vgpr5
	s_or_saveexec_b64 s[6:7], s[6:7]
	v_mov_b32_e32 v4, s10
	s_xor_b64 exec, exec, s[6:7]
	s_cbranch_execz .LBB4_1060
.LBB4_2084:                             ;   in Loop: Header=BB4_62 Depth=1
	v_cmp_ne_u16_e32 vcc, 0, v5
	s_andn2_b64 s[4:5], s[4:5], exec
	s_and_b64 s[8:9], vcc, exec
	v_mov_b32_e32 v4, 0
	s_or_b64 s[4:5], s[4:5], s[8:9]
	s_or_b64 exec, exec, s[6:7]
	s_and_saveexec_b64 s[6:7], s[4:5]
	s_cbranch_execnz .LBB4_1061
	s_branch .LBB4_1062
.LBB4_2085:                             ;   in Loop: Header=BB4_62 Depth=1
	v_cmp_eq_u16_e32 vcc, s25, v6
	s_mov_b64 s[4:5], -1
                                        ; implicit-def: $sgpr10
	s_and_saveexec_b64 s[8:9], vcc
; %bb.2086:                             ;   in Loop: Header=BB4_62 Depth=1
	s_mov_b32 s10, 0x7f800001
	s_xor_b64 s[4:5], exec, -1
; %bb.2087:                             ;   in Loop: Header=BB4_62 Depth=1
	s_or_b64 exec, exec, s[8:9]
	s_and_b64 s[4:5], s[4:5], exec
	s_or_saveexec_b64 s[6:7], s[6:7]
	v_mov_b32_e32 v5, s10
	s_xor_b64 exec, exec, s[6:7]
	s_cbranch_execz .LBB4_1064
.LBB4_2088:                             ;   in Loop: Header=BB4_62 Depth=1
	v_cmp_ne_u16_e32 vcc, 0, v6
	s_andn2_b64 s[4:5], s[4:5], exec
	s_and_b64 s[8:9], vcc, exec
	v_mov_b32_e32 v5, 0
	s_or_b64 s[4:5], s[4:5], s[8:9]
	s_or_b64 exec, exec, s[6:7]
	s_and_saveexec_b64 s[6:7], s[4:5]
	s_cbranch_execnz .LBB4_1065
	s_branch .LBB4_1066
.LBB4_2089:                             ;   in Loop: Header=BB4_62 Depth=1
	v_cmp_eq_u16_sdwa s[12:13], v99, s25 src0_sel:BYTE_0 src1_sel:DWORD
	s_mov_b64 s[4:5], -1
                                        ; implicit-def: $sgpr10
	s_and_saveexec_b64 s[8:9], s[12:13]
; %bb.2090:                             ;   in Loop: Header=BB4_62 Depth=1
	s_mov_b32 s10, 0x7f800001
	s_xor_b64 s[4:5], exec, -1
; %bb.2091:                             ;   in Loop: Header=BB4_62 Depth=1
	s_or_b64 exec, exec, s[8:9]
	s_and_b64 s[4:5], s[4:5], exec
	s_or_saveexec_b64 s[6:7], s[6:7]
	v_mov_b32_e32 v6, s10
	s_xor_b64 exec, exec, s[6:7]
	s_cbranch_execz .LBB4_1068
.LBB4_2092:                             ;   in Loop: Header=BB4_62 Depth=1
	v_cmp_ne_u16_sdwa s[8:9], v99, v62 src0_sel:BYTE_0 src1_sel:DWORD
	s_andn2_b64 s[4:5], s[4:5], exec
	s_and_b64 s[8:9], s[8:9], exec
	v_mov_b32_e32 v6, 0
	s_or_b64 s[4:5], s[4:5], s[8:9]
	s_or_b64 exec, exec, s[6:7]
	s_and_saveexec_b64 s[6:7], s[4:5]
	s_cbranch_execnz .LBB4_1069
	s_branch .LBB4_1070
.LBB4_2093:                             ;   in Loop: Header=BB4_62 Depth=1
	v_cmp_eq_u16_sdwa s[12:13], v99, s25 src0_sel:BYTE_1 src1_sel:DWORD
	s_mov_b64 s[4:5], -1
                                        ; implicit-def: $sgpr10
	s_and_saveexec_b64 s[8:9], s[12:13]
; %bb.2094:                             ;   in Loop: Header=BB4_62 Depth=1
	s_mov_b32 s10, 0x7f800001
	s_xor_b64 s[4:5], exec, -1
; %bb.2095:                             ;   in Loop: Header=BB4_62 Depth=1
	s_or_b64 exec, exec, s[8:9]
	s_and_b64 s[4:5], s[4:5], exec
	s_or_saveexec_b64 s[6:7], s[6:7]
	v_mov_b32_e32 v7, s10
	s_xor_b64 exec, exec, s[6:7]
	s_cbranch_execz .LBB4_1072
.LBB4_2096:                             ;   in Loop: Header=BB4_62 Depth=1
	v_cmp_ne_u16_sdwa s[8:9], v99, v62 src0_sel:BYTE_1 src1_sel:DWORD
	s_andn2_b64 s[4:5], s[4:5], exec
	s_and_b64 s[8:9], s[8:9], exec
	v_mov_b32_e32 v7, 0
	s_or_b64 s[4:5], s[4:5], s[8:9]
	s_or_b64 exec, exec, s[6:7]
	s_and_saveexec_b64 s[6:7], s[4:5]
	s_cbranch_execnz .LBB4_1073
	s_branch .LBB4_1074
.LBB4_2097:                             ;   in Loop: Header=BB4_62 Depth=1
	v_cmp_eq_u16_e32 vcc, s25, v8
	s_mov_b64 s[4:5], -1
                                        ; implicit-def: $sgpr10
	s_and_saveexec_b64 s[8:9], vcc
; %bb.2098:                             ;   in Loop: Header=BB4_62 Depth=1
	s_mov_b32 s10, 0x7f800001
	s_xor_b64 s[4:5], exec, -1
; %bb.2099:                             ;   in Loop: Header=BB4_62 Depth=1
	s_or_b64 exec, exec, s[8:9]
	s_and_b64 s[4:5], s[4:5], exec
                                        ; implicit-def: $vgpr8
	s_or_saveexec_b64 s[6:7], s[6:7]
	v_mov_b32_e32 v98, s10
	s_xor_b64 exec, exec, s[6:7]
	s_cbranch_execz .LBB4_1076
.LBB4_2100:                             ;   in Loop: Header=BB4_62 Depth=1
	v_cmp_ne_u16_e32 vcc, 0, v8
	s_andn2_b64 s[4:5], s[4:5], exec
	s_and_b64 s[8:9], vcc, exec
	v_mov_b32_e32 v98, 0
	s_or_b64 s[4:5], s[4:5], s[8:9]
	s_or_b64 exec, exec, s[6:7]
	s_and_saveexec_b64 s[6:7], s[4:5]
	s_cbranch_execnz .LBB4_1077
	s_branch .LBB4_1078
.LBB4_2101:                             ;   in Loop: Header=BB4_62 Depth=1
	v_cmp_eq_u16_e32 vcc, s25, v76
	s_mov_b64 s[4:5], -1
                                        ; implicit-def: $sgpr10
	s_and_saveexec_b64 s[8:9], vcc
; %bb.2102:                             ;   in Loop: Header=BB4_62 Depth=1
	s_mov_b32 s10, 0x7f800001
	s_xor_b64 s[4:5], exec, -1
; %bb.2103:                             ;   in Loop: Header=BB4_62 Depth=1
	s_or_b64 exec, exec, s[8:9]
	s_and_b64 s[4:5], s[4:5], exec
	s_or_saveexec_b64 s[6:7], s[6:7]
	v_mov_b32_e32 v8, s10
	s_xor_b64 exec, exec, s[6:7]
	s_cbranch_execz .LBB4_1080
.LBB4_2104:                             ;   in Loop: Header=BB4_62 Depth=1
	v_cmp_ne_u16_e32 vcc, 0, v76
	s_andn2_b64 s[4:5], s[4:5], exec
	s_and_b64 s[8:9], vcc, exec
	v_mov_b32_e32 v8, 0
	s_or_b64 s[4:5], s[4:5], s[8:9]
	s_or_b64 exec, exec, s[6:7]
	s_and_saveexec_b64 s[6:7], s[4:5]
	s_cbranch_execnz .LBB4_1081
	s_branch .LBB4_1082
.LBB4_2105:                             ;   in Loop: Header=BB4_62 Depth=1
	v_cmp_eq_u16_sdwa s[12:13], v96, s25 src0_sel:BYTE_0 src1_sel:DWORD
	s_mov_b64 s[4:5], -1
                                        ; implicit-def: $sgpr10
	s_and_saveexec_b64 s[8:9], s[12:13]
; %bb.2106:                             ;   in Loop: Header=BB4_62 Depth=1
	s_mov_b32 s10, 0x7f800001
	s_xor_b64 s[4:5], exec, -1
; %bb.2107:                             ;   in Loop: Header=BB4_62 Depth=1
	s_or_b64 exec, exec, s[8:9]
	s_and_b64 s[4:5], s[4:5], exec
	s_or_saveexec_b64 s[6:7], s[6:7]
	v_mov_b32_e32 v0, s10
	s_xor_b64 exec, exec, s[6:7]
	s_cbranch_execz .LBB4_1084
.LBB4_2108:                             ;   in Loop: Header=BB4_62 Depth=1
	v_cmp_ne_u16_sdwa s[8:9], v96, v62 src0_sel:BYTE_0 src1_sel:DWORD
	s_andn2_b64 s[4:5], s[4:5], exec
	s_and_b64 s[8:9], s[8:9], exec
	v_mov_b32_e32 v0, 0
	s_or_b64 s[4:5], s[4:5], s[8:9]
	s_or_b64 exec, exec, s[6:7]
	s_and_saveexec_b64 s[6:7], s[4:5]
	s_cbranch_execnz .LBB4_1085
	s_branch .LBB4_1086
.LBB4_2109:                             ;   in Loop: Header=BB4_62 Depth=1
	v_cmp_eq_u16_sdwa s[12:13], v96, s25 src0_sel:BYTE_1 src1_sel:DWORD
	s_mov_b64 s[4:5], -1
                                        ; implicit-def: $sgpr10
	s_and_saveexec_b64 s[8:9], s[12:13]
; %bb.2110:                             ;   in Loop: Header=BB4_62 Depth=1
	s_mov_b32 s10, 0x7f800001
	s_xor_b64 s[4:5], exec, -1
; %bb.2111:                             ;   in Loop: Header=BB4_62 Depth=1
	s_or_b64 exec, exec, s[8:9]
	s_and_b64 s[4:5], s[4:5], exec
	s_or_saveexec_b64 s[6:7], s[6:7]
	v_mov_b32_e32 v1, s10
	s_xor_b64 exec, exec, s[6:7]
	s_cbranch_execz .LBB4_1088
.LBB4_2112:                             ;   in Loop: Header=BB4_62 Depth=1
	v_cmp_ne_u16_sdwa s[8:9], v96, v62 src0_sel:BYTE_1 src1_sel:DWORD
	s_andn2_b64 s[4:5], s[4:5], exec
	s_and_b64 s[8:9], s[8:9], exec
	v_mov_b32_e32 v1, 0
	s_or_b64 s[4:5], s[4:5], s[8:9]
	s_or_b64 exec, exec, s[6:7]
	s_and_saveexec_b64 s[6:7], s[4:5]
	s_cbranch_execnz .LBB4_1089
	s_branch .LBB4_1090
.LBB4_2113:                             ;   in Loop: Header=BB4_62 Depth=1
	v_cmp_eq_u16_e32 vcc, s25, v3
	s_mov_b64 s[4:5], -1
                                        ; implicit-def: $sgpr10
	s_and_saveexec_b64 s[8:9], vcc
; %bb.2114:                             ;   in Loop: Header=BB4_62 Depth=1
	s_mov_b32 s10, 0x7f800001
	s_xor_b64 s[4:5], exec, -1
; %bb.2115:                             ;   in Loop: Header=BB4_62 Depth=1
	s_or_b64 exec, exec, s[8:9]
	s_and_b64 s[4:5], s[4:5], exec
                                        ; implicit-def: $vgpr3
	s_or_saveexec_b64 s[6:7], s[6:7]
	v_mov_b32_e32 v2, s10
	s_xor_b64 exec, exec, s[6:7]
	s_cbranch_execz .LBB4_1092
.LBB4_2116:                             ;   in Loop: Header=BB4_62 Depth=1
	v_cmp_ne_u16_e32 vcc, 0, v3
	s_andn2_b64 s[4:5], s[4:5], exec
	s_and_b64 s[8:9], vcc, exec
	v_mov_b32_e32 v2, 0
	s_or_b64 s[4:5], s[4:5], s[8:9]
	s_or_b64 exec, exec, s[6:7]
	s_and_saveexec_b64 s[6:7], s[4:5]
	s_cbranch_execnz .LBB4_1093
	s_branch .LBB4_1094
.LBB4_2117:                             ;   in Loop: Header=BB4_62 Depth=1
	v_cmp_eq_u16_e32 vcc, s25, v4
	s_mov_b64 s[4:5], -1
                                        ; implicit-def: $sgpr10
	s_and_saveexec_b64 s[8:9], vcc
; %bb.2118:                             ;   in Loop: Header=BB4_62 Depth=1
	s_mov_b32 s10, 0x7f800001
	s_xor_b64 s[4:5], exec, -1
; %bb.2119:                             ;   in Loop: Header=BB4_62 Depth=1
	s_or_b64 exec, exec, s[8:9]
	s_and_b64 s[4:5], s[4:5], exec
	s_or_saveexec_b64 s[6:7], s[6:7]
	v_mov_b32_e32 v3, s10
	s_xor_b64 exec, exec, s[6:7]
	s_cbranch_execz .LBB4_1096
.LBB4_2120:                             ;   in Loop: Header=BB4_62 Depth=1
	v_cmp_ne_u16_e32 vcc, 0, v4
	s_andn2_b64 s[4:5], s[4:5], exec
	s_and_b64 s[8:9], vcc, exec
	v_mov_b32_e32 v3, 0
	s_or_b64 s[4:5], s[4:5], s[8:9]
	s_or_b64 exec, exec, s[6:7]
	s_and_saveexec_b64 s[6:7], s[4:5]
	s_cbranch_execnz .LBB4_1097
	s_branch .LBB4_1098
.LBB4_2121:                             ;   in Loop: Header=BB4_62 Depth=1
	v_cmp_eq_u16_sdwa s[12:13], v97, s25 src0_sel:BYTE_0 src1_sel:DWORD
	s_mov_b64 s[4:5], -1
                                        ; implicit-def: $sgpr10
	s_and_saveexec_b64 s[8:9], s[12:13]
; %bb.2122:                             ;   in Loop: Header=BB4_62 Depth=1
	s_mov_b32 s10, 0x7f800001
	s_xor_b64 s[4:5], exec, -1
; %bb.2123:                             ;   in Loop: Header=BB4_62 Depth=1
	s_or_b64 exec, exec, s[8:9]
	s_and_b64 s[4:5], s[4:5], exec
	s_or_saveexec_b64 s[6:7], s[6:7]
	v_mov_b32_e32 v96, s10
	s_xor_b64 exec, exec, s[6:7]
	s_cbranch_execz .LBB4_1100
.LBB4_2124:                             ;   in Loop: Header=BB4_62 Depth=1
	v_cmp_ne_u16_sdwa s[8:9], v97, v62 src0_sel:BYTE_0 src1_sel:DWORD
	s_andn2_b64 s[4:5], s[4:5], exec
	s_and_b64 s[8:9], s[8:9], exec
	v_mov_b32_e32 v96, 0
	s_or_b64 s[4:5], s[4:5], s[8:9]
	s_or_b64 exec, exec, s[6:7]
	s_and_saveexec_b64 s[6:7], s[4:5]
	s_cbranch_execnz .LBB4_1101
	s_branch .LBB4_1102
.LBB4_2125:                             ;   in Loop: Header=BB4_62 Depth=1
	v_cmp_eq_u16_sdwa s[12:13], v97, s25 src0_sel:BYTE_1 src1_sel:DWORD
	s_mov_b64 s[4:5], -1
                                        ; implicit-def: $sgpr10
	s_and_saveexec_b64 s[8:9], s[12:13]
; %bb.2126:                             ;   in Loop: Header=BB4_62 Depth=1
	s_mov_b32 s10, 0x7f800001
	s_xor_b64 s[4:5], exec, -1
; %bb.2127:                             ;   in Loop: Header=BB4_62 Depth=1
	s_or_b64 exec, exec, s[8:9]
	s_and_b64 s[4:5], s[4:5], exec
	s_or_saveexec_b64 s[6:7], s[6:7]
	v_mov_b32_e32 v114, s10
	s_xor_b64 exec, exec, s[6:7]
	s_cbranch_execz .LBB4_1104
.LBB4_2128:                             ;   in Loop: Header=BB4_62 Depth=1
	v_cmp_ne_u16_sdwa s[8:9], v97, v62 src0_sel:BYTE_1 src1_sel:DWORD
	s_andn2_b64 s[4:5], s[4:5], exec
	s_and_b64 s[8:9], s[8:9], exec
	v_mov_b32_e32 v114, 0
	s_or_b64 s[4:5], s[4:5], s[8:9]
	s_or_b64 exec, exec, s[6:7]
	s_and_saveexec_b64 s[6:7], s[4:5]
	s_cbranch_execnz .LBB4_1105
	s_branch .LBB4_1106
.LBB4_2129:                             ;   in Loop: Header=BB4_62 Depth=1
	v_cmp_eq_u16_e32 vcc, s25, v4
	s_mov_b64 s[4:5], -1
                                        ; implicit-def: $sgpr10
	s_and_saveexec_b64 s[8:9], vcc
; %bb.2130:                             ;   in Loop: Header=BB4_62 Depth=1
	s_mov_b32 s10, 0x7f800001
	s_xor_b64 s[4:5], exec, -1
; %bb.2131:                             ;   in Loop: Header=BB4_62 Depth=1
	s_or_b64 exec, exec, s[8:9]
	s_and_b64 s[4:5], s[4:5], exec
                                        ; implicit-def: $vgpr4
	s_or_saveexec_b64 s[6:7], s[6:7]
	v_mov_b32_e32 v115, s10
	s_xor_b64 exec, exec, s[6:7]
	s_cbranch_execz .LBB4_1108
.LBB4_2132:                             ;   in Loop: Header=BB4_62 Depth=1
	v_cmp_ne_u16_e32 vcc, 0, v4
	s_andn2_b64 s[4:5], s[4:5], exec
	s_and_b64 s[8:9], vcc, exec
	v_mov_b32_e32 v115, 0
	s_or_b64 s[4:5], s[4:5], s[8:9]
	s_or_b64 exec, exec, s[6:7]
	s_and_saveexec_b64 s[6:7], s[4:5]
	s_cbranch_execnz .LBB4_1109
	s_branch .LBB4_1110
.LBB4_2133:                             ;   in Loop: Header=BB4_62 Depth=1
	v_cmp_eq_u16_e32 vcc, s25, v4
	s_mov_b64 s[4:5], -1
                                        ; implicit-def: $sgpr10
	s_and_saveexec_b64 s[8:9], vcc
; %bb.2134:                             ;   in Loop: Header=BB4_62 Depth=1
	s_mov_b32 s10, 0x7f800001
	s_xor_b64 s[4:5], exec, -1
; %bb.2135:                             ;   in Loop: Header=BB4_62 Depth=1
	s_or_b64 exec, exec, s[8:9]
	s_and_b64 s[4:5], s[4:5], exec
	s_or_saveexec_b64 s[6:7], s[6:7]
	v_mov_b32_e32 v61, s10
	s_xor_b64 exec, exec, s[6:7]
	s_cbranch_execz .LBB4_1112
.LBB4_2136:                             ;   in Loop: Header=BB4_62 Depth=1
	v_cmp_ne_u16_e32 vcc, 0, v4
	s_andn2_b64 s[4:5], s[4:5], exec
	s_and_b64 s[8:9], vcc, exec
	v_mov_b32_e32 v61, 0
	s_or_b64 s[4:5], s[4:5], s[8:9]
	s_or_b64 exec, exec, s[6:7]
	s_and_saveexec_b64 s[6:7], s[4:5]
	s_cbranch_execnz .LBB4_1113
	s_branch .LBB4_1114
.LBB4_2137:                             ;   in Loop: Header=BB4_62 Depth=1
	v_cmp_eq_u16_sdwa s[12:13], v98, s25 src0_sel:BYTE_0 src1_sel:DWORD
	s_mov_b64 s[4:5], -1
                                        ; implicit-def: $sgpr10
	s_and_saveexec_b64 s[8:9], s[12:13]
; %bb.2138:                             ;   in Loop: Header=BB4_62 Depth=1
	s_mov_b32 s10, 0x7f800001
	s_xor_b64 s[4:5], exec, -1
; %bb.2139:                             ;   in Loop: Header=BB4_62 Depth=1
	s_or_b64 exec, exec, s[8:9]
	s_and_b64 s[4:5], s[4:5], exec
	s_or_saveexec_b64 s[6:7], s[6:7]
	v_mov_b32_e32 v97, s10
	s_xor_b64 exec, exec, s[6:7]
	s_cbranch_execz .LBB4_1116
.LBB4_2140:                             ;   in Loop: Header=BB4_62 Depth=1
	v_cmp_ne_u16_sdwa s[8:9], v98, v62 src0_sel:BYTE_0 src1_sel:DWORD
	s_andn2_b64 s[4:5], s[4:5], exec
	s_and_b64 s[8:9], s[8:9], exec
	v_mov_b32_e32 v97, 0
	s_or_b64 s[4:5], s[4:5], s[8:9]
	s_or_b64 exec, exec, s[6:7]
	s_and_saveexec_b64 s[6:7], s[4:5]
	s_cbranch_execnz .LBB4_1117
	s_branch .LBB4_1118
.LBB4_2141:                             ;   in Loop: Header=BB4_62 Depth=1
	v_cmp_eq_u16_sdwa s[12:13], v98, s25 src0_sel:BYTE_1 src1_sel:DWORD
	s_mov_b64 s[4:5], -1
                                        ; implicit-def: $sgpr10
	s_and_saveexec_b64 s[8:9], s[12:13]
; %bb.2142:                             ;   in Loop: Header=BB4_62 Depth=1
	s_mov_b32 s10, 0x7f800001
	s_xor_b64 s[4:5], exec, -1
; %bb.2143:                             ;   in Loop: Header=BB4_62 Depth=1
	s_or_b64 exec, exec, s[8:9]
	s_and_b64 s[4:5], s[4:5], exec
	s_or_saveexec_b64 s[6:7], s[6:7]
	v_mov_b32_e32 v63, s10
	s_xor_b64 exec, exec, s[6:7]
	s_cbranch_execz .LBB4_1120
.LBB4_2144:                             ;   in Loop: Header=BB4_62 Depth=1
	v_cmp_ne_u16_sdwa s[8:9], v98, v62 src0_sel:BYTE_1 src1_sel:DWORD
	s_andn2_b64 s[4:5], s[4:5], exec
	s_and_b64 s[8:9], s[8:9], exec
	v_mov_b32_e32 v63, 0
	s_or_b64 s[4:5], s[4:5], s[8:9]
	s_or_b64 exec, exec, s[6:7]
	s_and_saveexec_b64 s[6:7], s[4:5]
	s_cbranch_execnz .LBB4_1121
	s_branch .LBB4_1122
.LBB4_2145:                             ;   in Loop: Header=BB4_62 Depth=1
	v_cmp_eq_u16_e32 vcc, s25, v5
	s_mov_b64 s[4:5], -1
                                        ; implicit-def: $sgpr10
	s_and_saveexec_b64 s[8:9], vcc
; %bb.2146:                             ;   in Loop: Header=BB4_62 Depth=1
	s_mov_b32 s10, 0x7f800001
	s_xor_b64 s[4:5], exec, -1
; %bb.2147:                             ;   in Loop: Header=BB4_62 Depth=1
	s_or_b64 exec, exec, s[8:9]
	s_and_b64 s[4:5], s[4:5], exec
                                        ; implicit-def: $vgpr5
	s_or_saveexec_b64 s[6:7], s[6:7]
	v_mov_b32_e32 v4, s10
	s_xor_b64 exec, exec, s[6:7]
	s_cbranch_execz .LBB4_1124
.LBB4_2148:                             ;   in Loop: Header=BB4_62 Depth=1
	v_cmp_ne_u16_e32 vcc, 0, v5
	s_andn2_b64 s[4:5], s[4:5], exec
	s_and_b64 s[8:9], vcc, exec
	v_mov_b32_e32 v4, 0
	s_or_b64 s[4:5], s[4:5], s[8:9]
	s_or_b64 exec, exec, s[6:7]
	s_and_saveexec_b64 s[6:7], s[4:5]
	s_cbranch_execnz .LBB4_1125
	s_branch .LBB4_1126
.LBB4_2149:                             ;   in Loop: Header=BB4_62 Depth=1
	v_cmp_eq_u16_e32 vcc, s25, v6
	s_mov_b64 s[4:5], -1
                                        ; implicit-def: $sgpr10
	s_and_saveexec_b64 s[8:9], vcc
; %bb.2150:                             ;   in Loop: Header=BB4_62 Depth=1
	s_mov_b32 s10, 0x7f800001
	s_xor_b64 s[4:5], exec, -1
; %bb.2151:                             ;   in Loop: Header=BB4_62 Depth=1
	s_or_b64 exec, exec, s[8:9]
	s_and_b64 s[4:5], s[4:5], exec
	s_or_saveexec_b64 s[6:7], s[6:7]
	v_mov_b32_e32 v5, s10
	s_xor_b64 exec, exec, s[6:7]
	s_cbranch_execz .LBB4_1128
.LBB4_2152:                             ;   in Loop: Header=BB4_62 Depth=1
	v_cmp_ne_u16_e32 vcc, 0, v6
	s_andn2_b64 s[4:5], s[4:5], exec
	s_and_b64 s[8:9], vcc, exec
	v_mov_b32_e32 v5, 0
	s_or_b64 s[4:5], s[4:5], s[8:9]
	s_or_b64 exec, exec, s[6:7]
	s_and_saveexec_b64 s[6:7], s[4:5]
	s_cbranch_execnz .LBB4_1129
	s_branch .LBB4_1130
.LBB4_2153:                             ;   in Loop: Header=BB4_62 Depth=1
	v_cmp_eq_u16_sdwa s[12:13], v99, s25 src0_sel:BYTE_0 src1_sel:DWORD
	s_mov_b64 s[4:5], -1
                                        ; implicit-def: $sgpr10
	s_and_saveexec_b64 s[8:9], s[12:13]
; %bb.2154:                             ;   in Loop: Header=BB4_62 Depth=1
	s_mov_b32 s10, 0x7f800001
	s_xor_b64 s[4:5], exec, -1
; %bb.2155:                             ;   in Loop: Header=BB4_62 Depth=1
	s_or_b64 exec, exec, s[8:9]
	s_and_b64 s[4:5], s[4:5], exec
	s_or_saveexec_b64 s[6:7], s[6:7]
	v_mov_b32_e32 v6, s10
	s_xor_b64 exec, exec, s[6:7]
	s_cbranch_execz .LBB4_1132
.LBB4_2156:                             ;   in Loop: Header=BB4_62 Depth=1
	v_cmp_ne_u16_sdwa s[8:9], v99, v62 src0_sel:BYTE_0 src1_sel:DWORD
	s_andn2_b64 s[4:5], s[4:5], exec
	s_and_b64 s[8:9], s[8:9], exec
	v_mov_b32_e32 v6, 0
	s_or_b64 s[4:5], s[4:5], s[8:9]
	s_or_b64 exec, exec, s[6:7]
	s_and_saveexec_b64 s[6:7], s[4:5]
	s_cbranch_execnz .LBB4_1133
	s_branch .LBB4_1134
.LBB4_2157:                             ;   in Loop: Header=BB4_62 Depth=1
	v_cmp_eq_u16_sdwa s[12:13], v99, s25 src0_sel:BYTE_1 src1_sel:DWORD
	s_mov_b64 s[4:5], -1
                                        ; implicit-def: $sgpr10
	s_and_saveexec_b64 s[8:9], s[12:13]
; %bb.2158:                             ;   in Loop: Header=BB4_62 Depth=1
	s_mov_b32 s10, 0x7f800001
	s_xor_b64 s[4:5], exec, -1
; %bb.2159:                             ;   in Loop: Header=BB4_62 Depth=1
	s_or_b64 exec, exec, s[8:9]
	s_and_b64 s[4:5], s[4:5], exec
	s_or_saveexec_b64 s[6:7], s[6:7]
	v_mov_b32_e32 v7, s10
	s_xor_b64 exec, exec, s[6:7]
	s_cbranch_execz .LBB4_1136
.LBB4_2160:                             ;   in Loop: Header=BB4_62 Depth=1
	v_cmp_ne_u16_sdwa s[8:9], v99, v62 src0_sel:BYTE_1 src1_sel:DWORD
	s_andn2_b64 s[4:5], s[4:5], exec
	s_and_b64 s[8:9], s[8:9], exec
	v_mov_b32_e32 v7, 0
	s_or_b64 s[4:5], s[4:5], s[8:9]
	s_or_b64 exec, exec, s[6:7]
	s_and_saveexec_b64 s[6:7], s[4:5]
	s_cbranch_execnz .LBB4_1137
	s_branch .LBB4_1138
.LBB4_2161:                             ;   in Loop: Header=BB4_62 Depth=1
	v_cmp_eq_u16_e32 vcc, s25, v8
	s_mov_b64 s[4:5], -1
                                        ; implicit-def: $sgpr10
	s_and_saveexec_b64 s[8:9], vcc
; %bb.2162:                             ;   in Loop: Header=BB4_62 Depth=1
	s_mov_b32 s10, 0x7f800001
	s_xor_b64 s[4:5], exec, -1
; %bb.2163:                             ;   in Loop: Header=BB4_62 Depth=1
	s_or_b64 exec, exec, s[8:9]
	s_and_b64 s[4:5], s[4:5], exec
                                        ; implicit-def: $vgpr8
	s_or_saveexec_b64 s[6:7], s[6:7]
	v_mov_b32_e32 v98, s10
	s_xor_b64 exec, exec, s[6:7]
	s_cbranch_execz .LBB4_1140
.LBB4_2164:                             ;   in Loop: Header=BB4_62 Depth=1
	v_cmp_ne_u16_e32 vcc, 0, v8
	s_andn2_b64 s[4:5], s[4:5], exec
	s_and_b64 s[8:9], vcc, exec
	v_mov_b32_e32 v98, 0
	s_or_b64 s[4:5], s[4:5], s[8:9]
	s_or_b64 exec, exec, s[6:7]
	s_and_saveexec_b64 s[6:7], s[4:5]
	s_cbranch_execnz .LBB4_1141
	s_branch .LBB4_1142
.LBB4_2165:                             ;   in Loop: Header=BB4_62 Depth=1
	v_cmp_eq_u16_e32 vcc, s25, v72
	s_mov_b64 s[4:5], -1
                                        ; implicit-def: $sgpr10
	s_and_saveexec_b64 s[8:9], vcc
; %bb.2166:                             ;   in Loop: Header=BB4_62 Depth=1
	s_mov_b32 s10, 0x7f800001
	s_xor_b64 s[4:5], exec, -1
; %bb.2167:                             ;   in Loop: Header=BB4_62 Depth=1
	s_or_b64 exec, exec, s[8:9]
	s_and_b64 s[4:5], s[4:5], exec
	s_or_saveexec_b64 s[6:7], s[6:7]
	v_mov_b32_e32 v8, s10
	s_xor_b64 exec, exec, s[6:7]
	s_cbranch_execz .LBB4_1144
.LBB4_2168:                             ;   in Loop: Header=BB4_62 Depth=1
	v_cmp_ne_u16_e32 vcc, 0, v72
	s_andn2_b64 s[4:5], s[4:5], exec
	s_and_b64 s[8:9], vcc, exec
	v_mov_b32_e32 v8, 0
	s_or_b64 s[4:5], s[4:5], s[8:9]
	s_or_b64 exec, exec, s[6:7]
	s_and_saveexec_b64 s[6:7], s[4:5]
	s_cbranch_execz .LBB4_61
.LBB4_2169:                             ;   in Loop: Header=BB4_62 Depth=1
	v_and_b32_e32 v8, 7, v72
	v_ffbh_u32_e32 v11, v8
	v_min_u32_e32 v11, 32, v11
	v_lshrrev_b16_sdwa v9, v44, v99 dst_sel:DWORD dst_unused:UNUSED_PAD src0_sel:DWORD src1_sel:WORD_1
	v_lshrrev_b16_sdwa v10, v60, v99 dst_sel:DWORD dst_unused:UNUSED_PAD src0_sel:DWORD src1_sel:WORD_1
	v_subrev_u32_e32 v99, 28, v11
	v_and_b32_e32 v10, 15, v10
	v_lshlrev_b32_e32 v99, v99, v8
	v_sub_u32_e32 v11, 29, v11
	v_and_b32_e32 v99, 7, v99
	v_cmp_eq_u16_e32 vcc, 0, v10
	v_cndmask_b32_e32 v8, v8, v99, vcc
	v_cndmask_b32_e32 v10, v10, v11, vcc
	v_lshlrev_b32_e32 v8, 20, v8
	v_lshlrev_b32_e32 v9, 31, v9
	v_lshl_add_u32 v10, v10, 23, v126
	v_or3_b32 v8, v9, v10, v8
	s_branch .LBB4_61
.LBB4_2170:
	s_or_b64 exec, exec, s[14:15]
	s_waitcnt lgkmcnt(0)
	; wave barrier
	flat_load_dwordx3 v[0:2], v[102:103] offset:208
	flat_load_dwordx2 v[6:7], v[102:103] offset:260
	flat_load_dwordx2 v[8:9], v[102:103] offset:224
	flat_load_dword v3, v[102:103] offset:252
	flat_load_dwordx2 v[4:5], v[78:79]
	v_accvgpr_read_b32 v119, a35
	s_mov_b64 s[14:15], src_private_base
	v_accvgpr_read_b32 v118, a34
	s_getpc_b64 s[16:17]
	s_add_u32 s16, s16, _ZNK2ck32ThreadwiseTensorSliceTransfer_v4INS_9f8_fnuz_tEDF16_KNS_16TensorDescriptorINS_5TupleIJNS_5EmbedINS3_IJNS_17integral_constantIiLi16EEENS5_IiLi32EEES6_EEENS3_IJS6_NS5_IiLi256EEENS5_IiLi1EEEEEELb0EEENS_3XorINS3_IJS7_S6_EEELb1EEENS_11PassThroughIS6_EENS_7UnMergeINS3_IJS6_SA_EEELb0EEENSG_IS7_EESH_SH_NS_21Merge_v3_division_modINS3_IJS7_SA_EEEEESH_NSM_INS3_IJS6_S6_EEEEENSI_INS3_IJNS5_IiLi2EEESA_S6_EEELb0EEEEEENS3_IJNS_8SequenceIJLi0EEEENSV_IJLi2ELi1EEEENSV_IJLi3EEEENSV_IJLi5EEEENSV_IJLi4EEEENSV_IJLi6EEEENSV_IJLi7EEEENSV_IJLi9ELi8EEEENSV_IJLi10EEEENSV_IJLi11ELi13EEEENSV_IJLi12EEEEEEENS3_IJNSV_IJLi1ELi2ELi3EEEENSV_IJLi4ELi5EEEES11_NSV_IJLi7ELi8EEEENSV_IJLi9EEEES14_NSV_IJLi11EEEES16_NSV_IJLi13EEEENSV_IJLi14EEEENSV_IJLi15ELi16ELi17EEEEEEENSV_IJLi15ELi16ELi17ELi14EEEENS5_IlLl8192EEEEEKNS2_INS3_IJNS4_INS3_IJSR_SA_SA_NS5_IiLi64EEEEEENS3_IJS1L_NS5_IiLi128EEES1N_SA_EEELb0EEEEEENS3_IJSW_EEENS3_IJNSV_IJLi1ELi2ELi3ELi4EEEEEEES1S_NS5_IlLl128EEEEENSV_IJLi1ELi1ELi1ELi64EEEENSV_IJLi0ELi1ELi2ELi3EEEELi3ELi16ELi16ELb0EE3RunINS3_IJNS5_IiLi0EEES21_S21_S21_EEES22_NS_13DynamicBufferILNS_16AddressSpaceEnumE2ES1_S1I_Lb1ELNS_22AmdBufferCoherenceEnumE0EiEENS_12StaticBufferILS24_4EDF16_Li128ELb1EEEEEvRS1K_RKT_RKT1_RS1W_RKT0_RT2_@rel32@lo+4
	s_addc_u32 s17, s17, _ZNK2ck32ThreadwiseTensorSliceTransfer_v4INS_9f8_fnuz_tEDF16_KNS_16TensorDescriptorINS_5TupleIJNS_5EmbedINS3_IJNS_17integral_constantIiLi16EEENS5_IiLi32EEES6_EEENS3_IJS6_NS5_IiLi256EEENS5_IiLi1EEEEEELb0EEENS_3XorINS3_IJS7_S6_EEELb1EEENS_11PassThroughIS6_EENS_7UnMergeINS3_IJS6_SA_EEELb0EEENSG_IS7_EESH_SH_NS_21Merge_v3_division_modINS3_IJS7_SA_EEEEESH_NSM_INS3_IJS6_S6_EEEEENSI_INS3_IJNS5_IiLi2EEESA_S6_EEELb0EEEEEENS3_IJNS_8SequenceIJLi0EEEENSV_IJLi2ELi1EEEENSV_IJLi3EEEENSV_IJLi5EEEENSV_IJLi4EEEENSV_IJLi6EEEENSV_IJLi7EEEENSV_IJLi9ELi8EEEENSV_IJLi10EEEENSV_IJLi11ELi13EEEENSV_IJLi12EEEEEEENS3_IJNSV_IJLi1ELi2ELi3EEEENSV_IJLi4ELi5EEEES11_NSV_IJLi7ELi8EEEENSV_IJLi9EEEES14_NSV_IJLi11EEEES16_NSV_IJLi13EEEENSV_IJLi14EEEENSV_IJLi15ELi16ELi17EEEEEEENSV_IJLi15ELi16ELi17ELi14EEEENS5_IlLl8192EEEEEKNS2_INS3_IJNS4_INS3_IJSR_SA_SA_NS5_IiLi64EEEEEENS3_IJS1L_NS5_IiLi128EEES1N_SA_EEELb0EEEEEENS3_IJSW_EEENS3_IJNSV_IJLi1ELi2ELi3ELi4EEEEEEES1S_NS5_IlLl128EEEEENSV_IJLi1ELi1ELi1ELi64EEEENSV_IJLi0ELi1ELi2ELi3EEEELi3ELi16ELi16ELb0EE3RunINS3_IJNS5_IiLi0EEES21_S21_S21_EEES22_NS_13DynamicBufferILNS_16AddressSpaceEnumE2ES1_S1I_Lb1ELNS_22AmdBufferCoherenceEnumE0EiEENS_12StaticBufferILS24_4EDF16_Li128ELb1EEEEEvRS1K_RKT_RKT1_RS1W_RKT0_RT2_@rel32@hi+12
	s_waitcnt vmcnt(0) lgkmcnt(0)
	v_ashrrev_i32_e32 v11, 31, v0
	v_mov_b32_e32 v10, v0
	v_add_u32_e32 v12, 8, v7
	v_sub_u32_e32 v16, v9, v3
	v_ashrrev_i32_e32 v9, 31, v8
	v_sub_u32_e32 v13, v8, v2
	v_add_u32_e32 v14, 16, v7
	v_add_u32_e32 v15, 24, v7
	v_lshlrev_b64 v[2:3], 1, v[10:11]
	v_ashrrev_i32_e32 v10, 31, v12
	v_add_u32_e32 v17, 32, v7
	v_lshrrev_b32_e32 v9, 27, v9
	v_lshl_add_u32 v0, v13, 8, v0
	v_ashrrev_i32_e32 v11, 31, v14
	v_ashrrev_i32_e32 v13, 31, v15
	v_lshrrev_b32_e32 v10, 29, v10
	v_ashrrev_i32_e32 v18, 31, v17
	v_add_u32_e32 v9, v8, v9
	v_sub_u32_e32 v0, v0, v6
	v_lshrrev_b32_e32 v6, 29, v11
	v_lshrrev_b32_e32 v11, 29, v13
	v_add_u32_e32 v10, v12, v10
	v_lshrrev_b32_e32 v13, 29, v18
	v_and_b32_e32 v9, 0xffffffe0, v9
	v_add_u32_e32 v6, v14, v6
	v_add_u32_e32 v11, v15, v11
	v_lshrrev_b32_e32 v18, 3, v10
	v_and_b32_e32 v10, -8, v10
	v_sub_u32_e32 v19, v8, v9
	v_lshrrev_b32_e32 v8, 3, v6
	v_lshrrev_b32_e32 v9, 3, v11
	v_sub_u32_e32 v10, v12, v10
	v_add_u32_e32 v12, v18, v16
	v_add_u32_e32 v8, v8, v16
	;; [unrolled: 1-line block ×3, first 2 shown]
	v_xor_b32_e32 v12, v12, v19
	v_xor_b32_e32 v8, v8, v19
	;; [unrolled: 1-line block ×3, first 2 shown]
	v_sub_u32_e32 v12, v12, v1
	v_add_u32_e32 v13, v17, v13
	v_and_b32_e32 v11, -8, v11
	v_sub_u32_e32 v8, v8, v1
	v_sub_u32_e32 v9, v9, v1
	v_lshlrev_b32_e32 v12, 3, v12
	v_and_b32_e32 v6, -8, v6
	v_lshrrev_b32_e32 v20, 3, v13
	v_sub_u32_e32 v11, v15, v11
	v_lshlrev_b32_e32 v15, 3, v8
	v_lshlrev_b32_e32 v9, 3, v9
	v_add3_u32 v8, v10, v0, v12
	v_add_co_u32_e32 v2, vcc, v4, v2
	v_sub_u32_e32 v6, v14, v6
	v_add_u32_e32 v14, v20, v16
	v_add3_u32 v12, v11, v0, v9
	v_ashrrev_i32_e32 v9, 31, v8
	v_addc_co_u32_e32 v3, vcc, v5, v3, vcc
	v_xor_b32_e32 v14, v14, v19
	v_add3_u32 v10, v6, v0, v15
	v_lshlrev_b64 v[8:9], 1, v[8:9]
	v_and_b32_e32 v13, -8, v13
	v_sub_u32_e32 v14, v14, v1
	v_ashrrev_i32_e32 v11, 31, v10
	v_add_co_u32_e32 v8, vcc, v4, v8
	v_sub_u32_e32 v13, v17, v13
	v_lshlrev_b32_e32 v14, 3, v14
	v_lshlrev_b64 v[10:11], 1, v[10:11]
	v_addc_co_u32_e32 v9, vcc, v5, v9, vcc
	v_add3_u32 v14, v13, v0, v14
	v_ashrrev_i32_e32 v13, 31, v12
	v_add_co_u32_e32 v10, vcc, v4, v10
	v_lshlrev_b64 v[12:13], 1, v[12:13]
	v_addc_co_u32_e32 v11, vcc, v5, v11, vcc
	v_add_co_u32_e32 v12, vcc, v4, v12
	v_add_u32_e32 v6, 40, v7
	v_addc_co_u32_e32 v13, vcc, v5, v13, vcc
	flat_load_dwordx4 v[80:83], v[2:3]
	flat_load_dwordx4 v[68:71], v[8:9]
	;; [unrolled: 1-line block ×4, first 2 shown]
	v_ashrrev_i32_e32 v8, 31, v6
	v_lshrrev_b32_e32 v8, 29, v8
	v_add_u32_e32 v8, v6, v8
	v_lshrrev_b32_e32 v9, 3, v8
	v_and_b32_e32 v8, -8, v8
	v_sub_u32_e32 v6, v6, v8
	v_add_u32_e32 v8, v9, v16
	v_xor_b32_e32 v8, v8, v19
	v_sub_u32_e32 v8, v8, v1
	v_ashrrev_i32_e32 v15, 31, v14
	v_lshlrev_b32_e32 v8, 3, v8
	v_lshlrev_b64 v[14:15], 1, v[14:15]
	v_add3_u32 v8, v6, v0, v8
	v_add_co_u32_e32 v2, vcc, v4, v14
	v_ashrrev_i32_e32 v9, 31, v8
	v_addc_co_u32_e32 v3, vcc, v5, v15, vcc
	v_lshlrev_b64 v[8:9], 1, v[8:9]
	v_add_co_u32_e32 v8, vcc, v4, v8
	v_addc_co_u32_e32 v9, vcc, v5, v9, vcc
	flat_load_dwordx4 v[48:51], v[2:3]
	flat_load_dwordx4 v[36:39], v[8:9]
	v_add_u32_e32 v2, 48, v7
	v_ashrrev_i32_e32 v3, 31, v2
	v_lshrrev_b32_e32 v3, 29, v3
	v_add_u32_e32 v3, v2, v3
	v_lshrrev_b32_e32 v6, 3, v3
	v_and_b32_e32 v3, -8, v3
	v_sub_u32_e32 v2, v2, v3
	v_add_u32_e32 v3, v6, v16
	v_add_u32_e32 v6, 56, v7
	v_ashrrev_i32_e32 v7, 31, v6
	v_lshrrev_b32_e32 v7, 29, v7
	v_add_u32_e32 v7, v6, v7
	v_xor_b32_e32 v3, v3, v19
	v_lshrrev_b32_e32 v8, 3, v7
	v_and_b32_e32 v7, -8, v7
	v_sub_u32_e32 v3, v3, v1
	v_sub_u32_e32 v6, v6, v7
	v_add_u32_e32 v7, v8, v16
	v_lshlrev_b32_e32 v3, 3, v3
	v_xor_b32_e32 v7, v7, v19
	v_add3_u32 v2, v2, v0, v3
	v_sub_u32_e32 v1, v7, v1
	v_ashrrev_i32_e32 v3, 31, v2
	v_lshlrev_b32_e32 v1, 3, v1
	v_lshlrev_b64 v[2:3], 1, v[2:3]
	v_add3_u32 v0, v6, v0, v1
	v_add_co_u32_e32 v2, vcc, v4, v2
	v_ashrrev_i32_e32 v1, 31, v0
	v_addc_co_u32_e32 v3, vcc, v5, v3, vcc
	v_lshlrev_b64 v[0:1], 1, v[0:1]
	v_add_co_u32_e32 v0, vcc, v4, v0
	v_addc_co_u32_e32 v1, vcc, v5, v1, vcc
	flat_load_dwordx4 v[32:35], v[2:3]
	flat_load_dwordx4 v[28:31], v[0:1]
	v_mov_b32_e32 v0, v118
	v_mov_b32_e32 v1, v119
	;; [unrolled: 1-line block ×4, first 2 shown]
	v_lshrrev_b32_e64 v4, 6, s33
	v_mov_b32_e32 v5, s15
	s_swappc_b64 s[30:31], s[16:17]
	v_mov_b32_e32 v0, v118
	v_mov_b32_e32 v1, v119
	;; [unrolled: 1-line block ×4, first 2 shown]
	v_lshrrev_b32_e64 v4, 6, s33
	s_getpc_b64 s[4:5]
	s_add_u32 s4, s4, _ZNK2ck32ThreadwiseTensorSliceTransfer_v4INS_9f8_fnuz_tEDF16_KNS_16TensorDescriptorINS_5TupleIJNS_5EmbedINS3_IJNS_17integral_constantIiLi16EEENS5_IiLi32EEES6_EEENS3_IJS6_NS5_IiLi256EEENS5_IiLi1EEEEEELb0EEENS_3XorINS3_IJS7_S6_EEELb1EEENS_11PassThroughIS6_EENS_7UnMergeINS3_IJS6_SA_EEELb0EEENSG_IS7_EESH_SH_NS_21Merge_v3_division_modINS3_IJS7_SA_EEEEESH_NSM_INS3_IJS6_S6_EEEEENSI_INS3_IJNS5_IiLi2EEESA_S6_EEELb0EEEEEENS3_IJNS_8SequenceIJLi0EEEENSV_IJLi2ELi1EEEENSV_IJLi3EEEENSV_IJLi5EEEENSV_IJLi4EEEENSV_IJLi6EEEENSV_IJLi7EEEENSV_IJLi9ELi8EEEENSV_IJLi10EEEENSV_IJLi11ELi13EEEENSV_IJLi12EEEEEEENS3_IJNSV_IJLi1ELi2ELi3EEEENSV_IJLi4ELi5EEEES11_NSV_IJLi7ELi8EEEENSV_IJLi9EEEES14_NSV_IJLi11EEEES16_NSV_IJLi13EEEENSV_IJLi14EEEENSV_IJLi15ELi16ELi17EEEEEEENSV_IJLi15ELi16ELi17ELi14EEEENS5_IlLl8192EEEEEKNS2_INS3_IJNS4_INS3_IJSR_SA_SA_NS5_IiLi64EEEEEENS3_IJS1L_NS5_IiLi128EEES1N_SA_EEELb0EEEEEENS3_IJSW_EEENS3_IJNSV_IJLi1ELi2ELi3ELi4EEEEEEES1S_NS5_IlLl128EEEEENSV_IJLi1ELi1ELi1ELi64EEEENSV_IJLi0ELi1ELi2ELi3EEEELi3ELi16ELi16ELb0EE3RunINS3_IJSA_NS5_IiLi0EEES21_S21_EEES22_NS_13DynamicBufferILNS_16AddressSpaceEnumE2ES1_S1I_Lb1ELNS_22AmdBufferCoherenceEnumE0EiEENS_12StaticBufferILS24_4EDF16_Li128ELb1EEEEEvRS1K_RKT_RKT1_RS1W_RKT0_RT2_@rel32@lo+4
	s_addc_u32 s5, s5, _ZNK2ck32ThreadwiseTensorSliceTransfer_v4INS_9f8_fnuz_tEDF16_KNS_16TensorDescriptorINS_5TupleIJNS_5EmbedINS3_IJNS_17integral_constantIiLi16EEENS5_IiLi32EEES6_EEENS3_IJS6_NS5_IiLi256EEENS5_IiLi1EEEEEELb0EEENS_3XorINS3_IJS7_S6_EEELb1EEENS_11PassThroughIS6_EENS_7UnMergeINS3_IJS6_SA_EEELb0EEENSG_IS7_EESH_SH_NS_21Merge_v3_division_modINS3_IJS7_SA_EEEEESH_NSM_INS3_IJS6_S6_EEEEENSI_INS3_IJNS5_IiLi2EEESA_S6_EEELb0EEEEEENS3_IJNS_8SequenceIJLi0EEEENSV_IJLi2ELi1EEEENSV_IJLi3EEEENSV_IJLi5EEEENSV_IJLi4EEEENSV_IJLi6EEEENSV_IJLi7EEEENSV_IJLi9ELi8EEEENSV_IJLi10EEEENSV_IJLi11ELi13EEEENSV_IJLi12EEEEEEENS3_IJNSV_IJLi1ELi2ELi3EEEENSV_IJLi4ELi5EEEES11_NSV_IJLi7ELi8EEEENSV_IJLi9EEEES14_NSV_IJLi11EEEES16_NSV_IJLi13EEEENSV_IJLi14EEEENSV_IJLi15ELi16ELi17EEEEEEENSV_IJLi15ELi16ELi17ELi14EEEENS5_IlLl8192EEEEEKNS2_INS3_IJNS4_INS3_IJSR_SA_SA_NS5_IiLi64EEEEEENS3_IJS1L_NS5_IiLi128EEES1N_SA_EEELb0EEEEEENS3_IJSW_EEENS3_IJNSV_IJLi1ELi2ELi3ELi4EEEEEEES1S_NS5_IlLl128EEEEENSV_IJLi1ELi1ELi1ELi64EEEENSV_IJLi0ELi1ELi2ELi3EEEELi3ELi16ELi16ELb0EE3RunINS3_IJSA_NS5_IiLi0EEES21_S21_EEES22_NS_13DynamicBufferILNS_16AddressSpaceEnumE2ES1_S1I_Lb1ELNS_22AmdBufferCoherenceEnumE0EiEENS_12StaticBufferILS24_4EDF16_Li128ELb1EEEEEvRS1K_RKT_RKT1_RS1W_RKT0_RT2_@rel32@hi+12
	s_swappc_b64 s[30:31], s[4:5]
	flat_load_dwordx2 v[10:11], v[102:103] offset:224
	flat_load_dwordx2 v[12:13], v[102:103] offset:240
	flat_load_dwordx4 v[0:3], v[102:103] offset:252
	flat_load_dwordx3 v[4:6], v[102:103] offset:208
	flat_load_dwordx2 v[8:9], v[78:79]
	s_waitcnt vmcnt(0) lgkmcnt(0)
	v_sub_u32_e32 v7, v10, v13
	v_add_u32_e32 v15, 32, v3
	v_add3_u32 v1, v7, v1, 16
	v_sub_u32_e32 v10, v11, v12
	v_add_u32_e32 v0, v12, v0
	v_add_u32_e32 v12, 16, v3
	v_ashrrev_i32_e32 v17, 31, v15
	v_ashrrev_i32_e32 v18, 31, v1
	v_add_u32_e32 v13, 8, v3
	v_sub_u32_e32 v16, v11, v0
	v_ashrrev_i32_e32 v0, 31, v12
	v_lshrrev_b32_e32 v17, 29, v17
	v_lshrrev_b32_e32 v18, 27, v18
	v_add_u32_e32 v14, 24, v3
	v_ashrrev_i32_e32 v7, 31, v13
	v_lshrrev_b32_e32 v0, 29, v0
	v_add_u32_e32 v17, v15, v17
	v_add_u32_e32 v18, v1, v18
	v_ashrrev_i32_e32 v11, 31, v14
	v_lshrrev_b32_e32 v7, 29, v7
	v_add_u32_e32 v0, v12, v0
	v_lshrrev_b32_e32 v22, 3, v17
	v_and_b32_e32 v17, -8, v17
	v_and_b32_e32 v18, 0xffffffe0, v18
	v_lshrrev_b32_e32 v11, 29, v11
	v_add_u32_e32 v7, v13, v7
	v_lshrrev_b32_e32 v20, 3, v0
	v_and_b32_e32 v0, -8, v0
	v_sub_u32_e32 v15, v15, v17
	v_sub_u32_e32 v17, v1, v18
	v_sub_u32_e32 v6, v1, v6
	v_add_u32_e32 v11, v14, v11
	v_lshrrev_b32_e32 v19, 3, v7
	v_and_b32_e32 v7, -8, v7
	v_sub_u32_e32 v12, v12, v0
	v_add_u32_e32 v0, v20, v16
	v_xor_b32_e32 v1, v17, v10
	v_lshrrev_b32_e32 v21, 3, v11
	v_and_b32_e32 v11, -8, v11
	v_sub_u32_e32 v7, v13, v7
	v_add_u32_e32 v13, v19, v16
	v_xor_b32_e32 v0, v0, v17
	v_sub_u32_e32 v1, v1, v5
	v_lshlrev_b32_e32 v6, 8, v6
	v_sub_u32_e32 v11, v14, v11
	v_add_u32_e32 v14, v21, v16
	v_xor_b32_e32 v10, v13, v17
	v_sub_u32_e32 v0, v0, v5
	v_lshlrev_b32_e32 v1, 3, v1
	v_sub_u32_e32 v2, v4, v2
	v_xor_b32_e32 v13, v14, v17
	v_sub_u32_e32 v10, v10, v5
	v_lshlrev_b32_e32 v14, 3, v0
	v_add3_u32 v0, v6, v4, v1
	v_add_u32_e32 v2, v2, v6
	v_lshlrev_b32_e32 v10, 3, v10
	v_ashrrev_i32_e32 v1, 31, v0
	v_add3_u32 v6, v7, v2, v10
	v_lshlrev_b64 v[0:1], 1, v[0:1]
	v_sub_u32_e32 v13, v13, v5
	v_ashrrev_i32_e32 v7, 31, v6
	v_add_co_u32_e32 v0, vcc, v8, v0
	v_lshlrev_b32_e32 v13, 3, v13
	v_add3_u32 v10, v12, v2, v14
	v_lshlrev_b64 v[6:7], 1, v[6:7]
	v_addc_co_u32_e32 v1, vcc, v9, v1, vcc
	v_add3_u32 v12, v11, v2, v13
	v_ashrrev_i32_e32 v11, 31, v10
	v_add_co_u32_e32 v6, vcc, v8, v6
	v_lshlrev_b64 v[10:11], 1, v[10:11]
	v_addc_co_u32_e32 v7, vcc, v9, v7, vcc
	v_ashrrev_i32_e32 v13, 31, v12
	v_add_co_u32_e32 v10, vcc, v8, v10
	v_lshlrev_b64 v[12:13], 1, v[12:13]
	v_addc_co_u32_e32 v11, vcc, v9, v11, vcc
	v_add_co_u32_e32 v12, vcc, v8, v12
	v_add_u32_e32 v4, 40, v3
	v_addc_co_u32_e32 v13, vcc, v9, v13, vcc
	flat_load_dwordx4 a[16:19], v[0:1]
	flat_load_dwordx4 a[12:15], v[6:7]
	;; [unrolled: 1-line block ×4, first 2 shown]
	v_ashrrev_i32_e32 v6, 31, v4
	v_lshrrev_b32_e32 v6, 29, v6
	v_add_u32_e32 v0, v22, v16
	v_add_u32_e32 v6, v4, v6
	v_xor_b32_e32 v0, v0, v17
	v_lshrrev_b32_e32 v7, 3, v6
	v_and_b32_e32 v6, -8, v6
	v_sub_u32_e32 v0, v0, v5
	v_sub_u32_e32 v4, v4, v6
	v_add_u32_e32 v6, v7, v16
	v_lshlrev_b32_e32 v0, 3, v0
	v_xor_b32_e32 v6, v6, v17
	v_add3_u32 v0, v15, v2, v0
	v_sub_u32_e32 v6, v6, v5
	v_ashrrev_i32_e32 v1, 31, v0
	v_lshlrev_b32_e32 v6, 3, v6
	v_lshlrev_b64 v[0:1], 1, v[0:1]
	v_add3_u32 v6, v4, v2, v6
	v_add_co_u32_e32 v0, vcc, v8, v0
	v_ashrrev_i32_e32 v7, 31, v6
	v_addc_co_u32_e32 v1, vcc, v9, v1, vcc
	v_lshlrev_b64 v[6:7], 1, v[6:7]
	v_add_co_u32_e32 v6, vcc, v8, v6
	v_addc_co_u32_e32 v7, vcc, v9, v7, vcc
	flat_load_dwordx4 a[0:3], v[0:1]
	flat_load_dwordx4 v[114:117], v[6:7]
	v_add_u32_e32 v0, 48, v3
	v_ashrrev_i32_e32 v1, 31, v0
	v_lshrrev_b32_e32 v1, 29, v1
	v_add_u32_e32 v1, v0, v1
	v_lshrrev_b32_e32 v4, 3, v1
	v_and_b32_e32 v1, -8, v1
	v_add_u32_e32 v3, 56, v3
	v_sub_u32_e32 v0, v0, v1
	v_add_u32_e32 v1, v4, v16
	v_ashrrev_i32_e32 v4, 31, v3
	v_lshrrev_b32_e32 v4, 29, v4
	v_add_u32_e32 v4, v3, v4
	v_xor_b32_e32 v1, v1, v17
	v_lshrrev_b32_e32 v6, 3, v4
	v_and_b32_e32 v4, -8, v4
	v_sub_u32_e32 v1, v1, v5
	v_sub_u32_e32 v3, v3, v4
	v_add_u32_e32 v4, v6, v16
	v_lshlrev_b32_e32 v1, 3, v1
	v_xor_b32_e32 v4, v4, v17
	v_add3_u32 v0, v0, v2, v1
	v_sub_u32_e32 v4, v4, v5
	v_ashrrev_i32_e32 v1, 31, v0
	v_lshlrev_b32_e32 v4, 3, v4
	v_lshlrev_b64 v[0:1], 1, v[0:1]
	v_add3_u32 v2, v3, v2, v4
	v_add_co_u32_e32 v0, vcc, v8, v0
	v_ashrrev_i32_e32 v3, 31, v2
	v_addc_co_u32_e32 v1, vcc, v9, v1, vcc
	v_lshlrev_b64 v[2:3], 1, v[2:3]
	v_add_co_u32_e32 v2, vcc, v8, v2
	v_addc_co_u32_e32 v3, vcc, v9, v3, vcc
	flat_load_dwordx4 v[84:87], v[0:1]
	flat_load_dwordx4 v[96:99], v[2:3]
	v_mov_b32_e32 v0, v118
	v_mov_b32_e32 v1, v119
	v_mov_b32_e32 v2, v112
	v_mov_b32_e32 v3, v113
	v_lshrrev_b32_e64 v4, 6, s33
	v_mov_b32_e32 v5, s15
	s_swappc_b64 s[30:31], s[16:17]
	flat_load_dwordx2 v[10:11], v[102:103] offset:296
	flat_load_dwordx2 v[12:13], v[102:103] offset:312
	flat_load_dword v0, v[102:103] offset:328
	flat_load_dwordx3 v[4:6], v[102:103] offset:280
	flat_load_dwordx2 v[8:9], v[112:113]
	s_movk_i32 s4, 0x7f
                                        ; implicit-def: $sgpr10
	s_waitcnt vmcnt(0) lgkmcnt(0)
	v_sub_u32_e32 v1, v10, v13
	v_add3_u32 v0, v1, v0, 16
	v_ashrrev_i32_e32 v1, 31, v0
	v_lshrrev_b32_e32 v1, 28, v1
	v_add_u32_e32 v1, v0, v1
	v_and_b32_e32 v1, -16, v1
	v_sub_u32_e32 v2, v11, v12
	v_sub_u32_e32 v10, v0, v1
	;; [unrolled: 1-line block ×3, first 2 shown]
	v_xor_b32_e32 v0, v10, v2
	v_sub_u32_e32 v0, v0, v5
	v_lshlrev_b32_e32 v13, 8, v3
	v_lshlrev_b32_e32 v0, 4, v0
	v_add3_u32 v0, v13, v4, v0
	v_ashrrev_i32_e32 v1, 31, v0
	v_add_co_u32_e32 v0, vcc, v8, v0
	v_addc_co_u32_e32 v1, vcc, v9, v1, vcc
	flat_load_dwordx4 v[0:3], v[0:1]
	s_waitcnt vmcnt(0) lgkmcnt(0)
	v_cmp_gt_i16_sdwa s[6:7], v0, s4 src0_sel:BYTE_0 src1_sel:DWORD
	s_mov_b64 s[4:5], 0
	s_and_saveexec_b64 s[8:9], s[6:7]
	s_xor_b64 s[6:7], exec, s[8:9]
	s_cbranch_execnz .LBB4_2427
; %bb.2171:
	s_or_saveexec_b64 s[6:7], s[6:7]
	v_mov_b32_e32 v6, s10
	s_xor_b64 exec, exec, s[6:7]
	s_cbranch_execnz .LBB4_2430
.LBB4_2172:
	s_or_b64 exec, exec, s[6:7]
	s_and_saveexec_b64 s[6:7], s[4:5]
	s_cbranch_execz .LBB4_2174
.LBB4_2173:
	v_and_b32_e32 v6, 7, v0
	v_ffbh_u32_e32 v15, v6
	v_min_u32_e32 v15, 32, v15
	v_lshrrev_b16_e32 v14, 3, v0
	v_subrev_u32_e32 v16, 28, v15
	v_and_b32_e32 v14, 15, v14
	v_lshlrev_b32_e32 v16, v16, v6
	v_sub_u32_e32 v15, 29, v15
	v_and_b32_e32 v16, 7, v16
	v_cmp_eq_u16_e32 vcc, 0, v14
	v_lshrrev_b16_e32 v7, 7, v0
	v_cndmask_b32_e32 v6, v6, v16, vcc
	v_cndmask_b32_e32 v14, v14, v15, vcc
	v_mov_b32_e32 v15, 0x3b800000
	v_lshlrev_b32_e32 v6, 20, v6
	v_lshlrev_b32_e32 v7, 31, v7
	v_lshl_add_u32 v14, v14, 23, v15
	v_or3_b32 v6, v7, v14, v6
.LBB4_2174:
	s_or_b64 exec, exec, s[6:7]
	s_movk_i32 s4, 0x7f
	v_cmp_gt_i16_sdwa s[6:7], v0, s4 src0_sel:BYTE_1 src1_sel:DWORD
	s_mov_b64 s[4:5], 0
                                        ; implicit-def: $sgpr10
	s_and_saveexec_b64 s[8:9], s[6:7]
	s_xor_b64 s[6:7], exec, s[8:9]
	s_cbranch_execnz .LBB4_2431
; %bb.2175:
	s_or_saveexec_b64 s[6:7], s[6:7]
	v_mov_b32_e32 v7, s10
	s_xor_b64 exec, exec, s[6:7]
	s_cbranch_execnz .LBB4_2434
.LBB4_2176:
	s_or_b64 exec, exec, s[6:7]
	s_and_saveexec_b64 s[6:7], s[4:5]
	s_cbranch_execz .LBB4_2178
.LBB4_2177:
	v_mov_b32_e32 v7, 7
	v_and_b32_sdwa v7, v0, v7 dst_sel:DWORD dst_unused:UNUSED_PAD src0_sel:BYTE_1 src1_sel:DWORD
	v_ffbh_u32_e32 v16, v7
	v_min_u32_e32 v16, 32, v16
	v_lshrrev_b16_e32 v15, 11, v0
	v_subrev_u32_e32 v17, 28, v16
	v_and_b32_e32 v15, 15, v15
	v_lshlrev_b32_e32 v17, v17, v7
	v_sub_u32_e32 v16, 29, v16
	v_and_b32_e32 v17, 7, v17
	v_cmp_eq_u16_e32 vcc, 0, v15
	v_lshrrev_b16_e32 v14, 15, v0
	v_cndmask_b32_e32 v7, v7, v17, vcc
	v_cndmask_b32_e32 v15, v15, v16, vcc
	v_mov_b32_e32 v16, 0x3b800000
	v_lshlrev_b32_e32 v7, 20, v7
	v_lshlrev_b32_e32 v14, 31, v14
	v_lshl_add_u32 v15, v15, 23, v16
	v_or3_b32 v7, v14, v15, v7
.LBB4_2178:
	s_or_b64 exec, exec, s[6:7]
	s_movk_i32 s4, 0xff
	v_and_b32_sdwa v15, v0, s4 dst_sel:DWORD dst_unused:UNUSED_PAD src0_sel:WORD_1 src1_sel:DWORD
	s_movk_i32 s4, 0x7f
	v_cmp_lt_i16_e32 vcc, s4, v15
	s_mov_b64 s[4:5], 0
                                        ; implicit-def: $sgpr10
	s_and_saveexec_b64 s[6:7], vcc
	s_xor_b64 s[6:7], exec, s[6:7]
	s_cbranch_execnz .LBB4_2435
; %bb.2179:
	s_or_saveexec_b64 s[6:7], s[6:7]
	v_mov_b32_e32 v14, s10
	s_xor_b64 exec, exec, s[6:7]
	s_cbranch_execnz .LBB4_2438
.LBB4_2180:
	s_or_b64 exec, exec, s[6:7]
	s_and_saveexec_b64 s[6:7], s[4:5]
	s_cbranch_execz .LBB4_2182
.LBB4_2181:
	v_mov_b32_e32 v14, 7
	v_and_b32_sdwa v15, v0, v14 dst_sel:DWORD dst_unused:UNUSED_PAD src0_sel:WORD_1 src1_sel:DWORD
	v_ffbh_u32_e32 v17, v15
	v_mov_b32_e32 v16, 3
	v_min_u32_e32 v17, 32, v17
	v_lshrrev_b16_sdwa v16, v16, v0 dst_sel:DWORD dst_unused:UNUSED_PAD src0_sel:DWORD src1_sel:WORD_1
	v_subrev_u32_e32 v18, 28, v17
	v_and_b32_e32 v16, 15, v16
	v_lshlrev_b32_e32 v18, v18, v15
	v_sub_u32_e32 v17, 29, v17
	v_and_b32_e32 v18, 7, v18
	v_cmp_eq_u16_e32 vcc, 0, v16
	v_lshrrev_b16_sdwa v14, v14, v0 dst_sel:DWORD dst_unused:UNUSED_PAD src0_sel:DWORD src1_sel:WORD_1
	v_cndmask_b32_e32 v15, v15, v18, vcc
	v_cndmask_b32_e32 v16, v16, v17, vcc
	v_mov_b32_e32 v17, 0x3b800000
	v_lshlrev_b32_e32 v15, 20, v15
	v_lshlrev_b32_e32 v14, 31, v14
	v_lshl_add_u32 v16, v16, 23, v17
	v_or3_b32 v14, v14, v16, v15
.LBB4_2182:
	s_or_b64 exec, exec, s[6:7]
	v_mov_b32_e32 v15, 8
	v_lshrrev_b16_sdwa v16, v15, v0 dst_sel:DWORD dst_unused:UNUSED_PAD src0_sel:DWORD src1_sel:WORD_1
	s_movk_i32 s4, 0x7f
	v_cmp_lt_i16_e32 vcc, s4, v16
	s_mov_b64 s[4:5], 0
                                        ; implicit-def: $sgpr10
	s_and_saveexec_b64 s[6:7], vcc
	s_xor_b64 s[6:7], exec, s[6:7]
	s_cbranch_execnz .LBB4_2439
; %bb.2183:
	s_or_saveexec_b64 s[6:7], s[6:7]
	v_mov_b32_e32 v15, s10
	s_xor_b64 exec, exec, s[6:7]
	s_cbranch_execnz .LBB4_2442
.LBB4_2184:
	s_or_b64 exec, exec, s[6:7]
	s_and_saveexec_b64 s[6:7], s[4:5]
	s_cbranch_execz .LBB4_2186
.LBB4_2185:
	v_mov_b32_e32 v15, 8
	v_lshrrev_b16_sdwa v15, v15, v0 dst_sel:DWORD dst_unused:UNUSED_PAD src0_sel:DWORD src1_sel:WORD_1
	v_and_b32_e32 v15, 7, v15
	v_mov_b32_e32 v16, 15
	v_mov_b32_e32 v17, 11
	v_lshrrev_b16_sdwa v16, v16, v0 dst_sel:DWORD dst_unused:UNUSED_PAD src0_sel:DWORD src1_sel:WORD_1
	v_lshrrev_b16_sdwa v0, v17, v0 dst_sel:DWORD dst_unused:UNUSED_PAD src0_sel:DWORD src1_sel:WORD_1
	v_ffbh_u32_e32 v17, v15
	v_min_u32_e32 v17, 32, v17
	v_subrev_u32_e32 v18, 28, v17
	v_and_b32_e32 v0, 15, v0
	v_lshlrev_b32_e32 v18, v18, v15
	v_sub_u32_e32 v17, 29, v17
	v_and_b32_e32 v18, 7, v18
	v_cmp_eq_u16_e32 vcc, 0, v0
	v_cndmask_b32_e32 v15, v15, v18, vcc
	v_cndmask_b32_e32 v0, v0, v17, vcc
	v_mov_b32_e32 v17, 0x3b800000
	v_lshlrev_b32_e32 v15, 20, v15
	v_lshlrev_b32_e32 v16, 31, v16
	v_lshl_add_u32 v0, v0, 23, v17
	v_or3_b32 v15, v16, v0, v15
.LBB4_2186:
	s_or_b64 exec, exec, s[6:7]
	s_movk_i32 s4, 0x7f
	v_cmp_gt_i16_sdwa s[6:7], v1, s4 src0_sel:BYTE_0 src1_sel:DWORD
	s_mov_b64 s[4:5], 0
                                        ; implicit-def: $sgpr10
	s_and_saveexec_b64 s[8:9], s[6:7]
	s_xor_b64 s[6:7], exec, s[8:9]
	s_cbranch_execnz .LBB4_2443
; %bb.2187:
	s_or_saveexec_b64 s[6:7], s[6:7]
	v_mov_b32_e32 v0, s10
	s_xor_b64 exec, exec, s[6:7]
	s_cbranch_execnz .LBB4_2446
.LBB4_2188:
	s_or_b64 exec, exec, s[6:7]
	s_and_saveexec_b64 s[6:7], s[4:5]
	s_cbranch_execz .LBB4_2190
.LBB4_2189:
	v_and_b32_e32 v0, 7, v1
	v_ffbh_u32_e32 v18, v0
	v_min_u32_e32 v18, 32, v18
	v_lshrrev_b16_e32 v17, 3, v1
	v_subrev_u32_e32 v19, 28, v18
	v_and_b32_e32 v17, 15, v17
	v_lshlrev_b32_e32 v19, v19, v0
	v_sub_u32_e32 v18, 29, v18
	v_and_b32_e32 v19, 7, v19
	v_cmp_eq_u16_e32 vcc, 0, v17
	v_lshrrev_b16_e32 v16, 7, v1
	v_cndmask_b32_e32 v0, v0, v19, vcc
	v_cndmask_b32_e32 v17, v17, v18, vcc
	v_mov_b32_e32 v18, 0x3b800000
	v_lshlrev_b32_e32 v0, 20, v0
	v_lshlrev_b32_e32 v16, 31, v16
	v_lshl_add_u32 v17, v17, 23, v18
	v_or3_b32 v0, v16, v17, v0
.LBB4_2190:
	s_or_b64 exec, exec, s[6:7]
	s_movk_i32 s4, 0x7f
	v_cmp_gt_i16_sdwa s[6:7], v1, s4 src0_sel:BYTE_1 src1_sel:DWORD
	s_mov_b64 s[4:5], 0
                                        ; implicit-def: $sgpr10
	s_and_saveexec_b64 s[8:9], s[6:7]
	s_xor_b64 s[6:7], exec, s[8:9]
	s_cbranch_execnz .LBB4_2447
; %bb.2191:
	s_or_saveexec_b64 s[6:7], s[6:7]
	v_mov_b32_e32 v16, s10
	s_xor_b64 exec, exec, s[6:7]
	s_cbranch_execnz .LBB4_2450
.LBB4_2192:
	s_or_b64 exec, exec, s[6:7]
	s_and_saveexec_b64 s[6:7], s[4:5]
	s_cbranch_execz .LBB4_2194
.LBB4_2193:
	v_mov_b32_e32 v16, 7
	v_and_b32_sdwa v16, v1, v16 dst_sel:DWORD dst_unused:UNUSED_PAD src0_sel:BYTE_1 src1_sel:DWORD
	v_ffbh_u32_e32 v19, v16
	v_min_u32_e32 v19, 32, v19
	v_lshrrev_b16_e32 v18, 11, v1
	v_subrev_u32_e32 v20, 28, v19
	v_and_b32_e32 v18, 15, v18
	v_lshlrev_b32_e32 v20, v20, v16
	v_sub_u32_e32 v19, 29, v19
	v_and_b32_e32 v20, 7, v20
	v_cmp_eq_u16_e32 vcc, 0, v18
	v_lshrrev_b16_e32 v17, 15, v1
	v_cndmask_b32_e32 v16, v16, v20, vcc
	v_cndmask_b32_e32 v18, v18, v19, vcc
	v_mov_b32_e32 v19, 0x3b800000
	v_lshlrev_b32_e32 v16, 20, v16
	v_lshlrev_b32_e32 v17, 31, v17
	v_lshl_add_u32 v18, v18, 23, v19
	v_or3_b32 v16, v17, v18, v16
.LBB4_2194:
	s_or_b64 exec, exec, s[6:7]
	s_movk_i32 s4, 0xff
	v_and_b32_sdwa v18, v1, s4 dst_sel:DWORD dst_unused:UNUSED_PAD src0_sel:WORD_1 src1_sel:DWORD
	s_movk_i32 s4, 0x7f
	v_cmp_lt_i16_e32 vcc, s4, v18
	s_mov_b64 s[4:5], 0
                                        ; implicit-def: $sgpr10
	s_and_saveexec_b64 s[6:7], vcc
	s_xor_b64 s[6:7], exec, s[6:7]
	s_cbranch_execnz .LBB4_2451
; %bb.2195:
	s_or_saveexec_b64 s[6:7], s[6:7]
	v_mov_b32_e32 v17, s10
	s_xor_b64 exec, exec, s[6:7]
	s_cbranch_execnz .LBB4_2454
.LBB4_2196:
	s_or_b64 exec, exec, s[6:7]
	s_and_saveexec_b64 s[6:7], s[4:5]
	s_cbranch_execz .LBB4_2198
.LBB4_2197:
	v_mov_b32_e32 v17, 7
	v_and_b32_sdwa v18, v1, v17 dst_sel:DWORD dst_unused:UNUSED_PAD src0_sel:WORD_1 src1_sel:DWORD
	v_ffbh_u32_e32 v20, v18
	v_mov_b32_e32 v19, 3
	v_min_u32_e32 v20, 32, v20
	v_lshrrev_b16_sdwa v19, v19, v1 dst_sel:DWORD dst_unused:UNUSED_PAD src0_sel:DWORD src1_sel:WORD_1
	v_subrev_u32_e32 v21, 28, v20
	v_and_b32_e32 v19, 15, v19
	v_lshlrev_b32_e32 v21, v21, v18
	v_sub_u32_e32 v20, 29, v20
	v_and_b32_e32 v21, 7, v21
	v_cmp_eq_u16_e32 vcc, 0, v19
	v_lshrrev_b16_sdwa v17, v17, v1 dst_sel:DWORD dst_unused:UNUSED_PAD src0_sel:DWORD src1_sel:WORD_1
	v_cndmask_b32_e32 v18, v18, v21, vcc
	v_cndmask_b32_e32 v19, v19, v20, vcc
	v_mov_b32_e32 v20, 0x3b800000
	v_lshlrev_b32_e32 v18, 20, v18
	v_lshlrev_b32_e32 v17, 31, v17
	v_lshl_add_u32 v19, v19, 23, v20
	v_or3_b32 v17, v17, v19, v18
.LBB4_2198:
	s_or_b64 exec, exec, s[6:7]
	v_mov_b32_e32 v18, 8
	v_lshrrev_b16_sdwa v19, v18, v1 dst_sel:DWORD dst_unused:UNUSED_PAD src0_sel:DWORD src1_sel:WORD_1
	s_movk_i32 s4, 0x7f
	v_cmp_lt_i16_e32 vcc, s4, v19
	s_mov_b64 s[4:5], 0
                                        ; implicit-def: $sgpr10
	s_and_saveexec_b64 s[6:7], vcc
	s_xor_b64 s[6:7], exec, s[6:7]
	s_cbranch_execnz .LBB4_2455
; %bb.2199:
	s_or_saveexec_b64 s[6:7], s[6:7]
	v_mov_b32_e32 v18, s10
	s_xor_b64 exec, exec, s[6:7]
	s_cbranch_execnz .LBB4_2458
.LBB4_2200:
	s_or_b64 exec, exec, s[6:7]
	s_and_saveexec_b64 s[6:7], s[4:5]
	s_cbranch_execz .LBB4_2202
.LBB4_2201:
	v_mov_b32_e32 v18, 8
	v_lshrrev_b16_sdwa v18, v18, v1 dst_sel:DWORD dst_unused:UNUSED_PAD src0_sel:DWORD src1_sel:WORD_1
	v_and_b32_e32 v18, 7, v18
	v_mov_b32_e32 v19, 15
	v_mov_b32_e32 v20, 11
	v_lshrrev_b16_sdwa v19, v19, v1 dst_sel:DWORD dst_unused:UNUSED_PAD src0_sel:DWORD src1_sel:WORD_1
	v_lshrrev_b16_sdwa v1, v20, v1 dst_sel:DWORD dst_unused:UNUSED_PAD src0_sel:DWORD src1_sel:WORD_1
	v_ffbh_u32_e32 v20, v18
	v_min_u32_e32 v20, 32, v20
	v_subrev_u32_e32 v21, 28, v20
	v_and_b32_e32 v1, 15, v1
	v_lshlrev_b32_e32 v21, v21, v18
	v_sub_u32_e32 v20, 29, v20
	v_and_b32_e32 v21, 7, v21
	v_cmp_eq_u16_e32 vcc, 0, v1
	v_cndmask_b32_e32 v18, v18, v21, vcc
	v_cndmask_b32_e32 v1, v1, v20, vcc
	v_mov_b32_e32 v20, 0x3b800000
	v_lshlrev_b32_e32 v18, 20, v18
	v_lshlrev_b32_e32 v19, 31, v19
	v_lshl_add_u32 v1, v1, 23, v20
	v_or3_b32 v18, v19, v1, v18
.LBB4_2202:
	s_or_b64 exec, exec, s[6:7]
	s_movk_i32 s4, 0x7f
	v_cmp_gt_i16_sdwa s[6:7], v2, s4 src0_sel:BYTE_0 src1_sel:DWORD
	s_mov_b64 s[4:5], 0
                                        ; implicit-def: $sgpr10
	s_and_saveexec_b64 s[8:9], s[6:7]
	s_xor_b64 s[6:7], exec, s[8:9]
	s_cbranch_execnz .LBB4_2459
; %bb.2203:
	s_or_saveexec_b64 s[6:7], s[6:7]
	v_mov_b32_e32 v1, s10
	s_xor_b64 exec, exec, s[6:7]
	s_cbranch_execnz .LBB4_2462
.LBB4_2204:
	s_or_b64 exec, exec, s[6:7]
	s_and_saveexec_b64 s[6:7], s[4:5]
	s_cbranch_execz .LBB4_2206
.LBB4_2205:
	v_and_b32_e32 v1, 7, v2
	v_ffbh_u32_e32 v21, v1
	v_min_u32_e32 v21, 32, v21
	v_lshrrev_b16_e32 v20, 3, v2
	v_subrev_u32_e32 v22, 28, v21
	v_and_b32_e32 v20, 15, v20
	v_lshlrev_b32_e32 v22, v22, v1
	v_sub_u32_e32 v21, 29, v21
	v_and_b32_e32 v22, 7, v22
	v_cmp_eq_u16_e32 vcc, 0, v20
	v_lshrrev_b16_e32 v19, 7, v2
	v_cndmask_b32_e32 v1, v1, v22, vcc
	v_cndmask_b32_e32 v20, v20, v21, vcc
	v_mov_b32_e32 v21, 0x3b800000
	v_lshlrev_b32_e32 v1, 20, v1
	v_lshlrev_b32_e32 v19, 31, v19
	v_lshl_add_u32 v20, v20, 23, v21
	v_or3_b32 v1, v19, v20, v1
.LBB4_2206:
	s_or_b64 exec, exec, s[6:7]
	s_movk_i32 s4, 0x7f
	v_cmp_gt_i16_sdwa s[6:7], v2, s4 src0_sel:BYTE_1 src1_sel:DWORD
	s_mov_b64 s[4:5], 0
                                        ; implicit-def: $sgpr10
	s_and_saveexec_b64 s[8:9], s[6:7]
	s_xor_b64 s[6:7], exec, s[8:9]
	s_cbranch_execnz .LBB4_2463
; %bb.2207:
	s_or_saveexec_b64 s[6:7], s[6:7]
	v_mov_b32_e32 v19, s10
	s_xor_b64 exec, exec, s[6:7]
	s_cbranch_execnz .LBB4_2466
.LBB4_2208:
	s_or_b64 exec, exec, s[6:7]
	s_and_saveexec_b64 s[6:7], s[4:5]
	s_cbranch_execz .LBB4_2210
.LBB4_2209:
	v_mov_b32_e32 v19, 7
	v_and_b32_sdwa v19, v2, v19 dst_sel:DWORD dst_unused:UNUSED_PAD src0_sel:BYTE_1 src1_sel:DWORD
	v_ffbh_u32_e32 v22, v19
	v_min_u32_e32 v22, 32, v22
	v_lshrrev_b16_e32 v21, 11, v2
	v_subrev_u32_e32 v23, 28, v22
	v_and_b32_e32 v21, 15, v21
	v_lshlrev_b32_e32 v23, v23, v19
	v_sub_u32_e32 v22, 29, v22
	v_and_b32_e32 v23, 7, v23
	v_cmp_eq_u16_e32 vcc, 0, v21
	v_lshrrev_b16_e32 v20, 15, v2
	v_cndmask_b32_e32 v19, v19, v23, vcc
	v_cndmask_b32_e32 v21, v21, v22, vcc
	v_mov_b32_e32 v22, 0x3b800000
	v_lshlrev_b32_e32 v19, 20, v19
	v_lshlrev_b32_e32 v20, 31, v20
	v_lshl_add_u32 v21, v21, 23, v22
	v_or3_b32 v19, v20, v21, v19
.LBB4_2210:
	s_or_b64 exec, exec, s[6:7]
	s_movk_i32 s4, 0xff
	v_and_b32_sdwa v21, v2, s4 dst_sel:DWORD dst_unused:UNUSED_PAD src0_sel:WORD_1 src1_sel:DWORD
	s_movk_i32 s4, 0x7f
	v_cmp_lt_i16_e32 vcc, s4, v21
	s_mov_b64 s[4:5], 0
                                        ; implicit-def: $sgpr10
	s_and_saveexec_b64 s[6:7], vcc
	s_xor_b64 s[6:7], exec, s[6:7]
	s_cbranch_execnz .LBB4_2467
; %bb.2211:
	s_or_saveexec_b64 s[6:7], s[6:7]
	v_mov_b32_e32 v20, s10
	s_xor_b64 exec, exec, s[6:7]
	s_cbranch_execnz .LBB4_2470
.LBB4_2212:
	s_or_b64 exec, exec, s[6:7]
	s_and_saveexec_b64 s[6:7], s[4:5]
	s_cbranch_execz .LBB4_2214
.LBB4_2213:
	v_mov_b32_e32 v20, 7
	v_and_b32_sdwa v21, v2, v20 dst_sel:DWORD dst_unused:UNUSED_PAD src0_sel:WORD_1 src1_sel:DWORD
	v_ffbh_u32_e32 v23, v21
	v_mov_b32_e32 v22, 3
	v_min_u32_e32 v23, 32, v23
	v_lshrrev_b16_sdwa v22, v22, v2 dst_sel:DWORD dst_unused:UNUSED_PAD src0_sel:DWORD src1_sel:WORD_1
	v_subrev_u32_e32 v24, 28, v23
	v_and_b32_e32 v22, 15, v22
	v_lshlrev_b32_e32 v24, v24, v21
	v_sub_u32_e32 v23, 29, v23
	v_and_b32_e32 v24, 7, v24
	v_cmp_eq_u16_e32 vcc, 0, v22
	v_lshrrev_b16_sdwa v20, v20, v2 dst_sel:DWORD dst_unused:UNUSED_PAD src0_sel:DWORD src1_sel:WORD_1
	v_cndmask_b32_e32 v21, v21, v24, vcc
	v_cndmask_b32_e32 v22, v22, v23, vcc
	v_mov_b32_e32 v23, 0x3b800000
	v_lshlrev_b32_e32 v21, 20, v21
	v_lshlrev_b32_e32 v20, 31, v20
	v_lshl_add_u32 v22, v22, 23, v23
	v_or3_b32 v20, v20, v22, v21
.LBB4_2214:
	s_or_b64 exec, exec, s[6:7]
	v_mov_b32_e32 v21, 8
	v_lshrrev_b16_sdwa v22, v21, v2 dst_sel:DWORD dst_unused:UNUSED_PAD src0_sel:DWORD src1_sel:WORD_1
	s_movk_i32 s4, 0x7f
	v_cmp_lt_i16_e32 vcc, s4, v22
	s_mov_b64 s[4:5], 0
                                        ; implicit-def: $sgpr10
	s_and_saveexec_b64 s[6:7], vcc
	s_xor_b64 s[6:7], exec, s[6:7]
	s_cbranch_execnz .LBB4_2471
; %bb.2215:
	s_or_saveexec_b64 s[6:7], s[6:7]
	v_mov_b32_e32 v21, s10
	s_xor_b64 exec, exec, s[6:7]
	s_cbranch_execnz .LBB4_2474
.LBB4_2216:
	s_or_b64 exec, exec, s[6:7]
	s_and_saveexec_b64 s[6:7], s[4:5]
	s_cbranch_execz .LBB4_2218
.LBB4_2217:
	v_mov_b32_e32 v21, 8
	v_lshrrev_b16_sdwa v21, v21, v2 dst_sel:DWORD dst_unused:UNUSED_PAD src0_sel:DWORD src1_sel:WORD_1
	v_and_b32_e32 v21, 7, v21
	v_mov_b32_e32 v22, 15
	v_mov_b32_e32 v23, 11
	v_lshrrev_b16_sdwa v22, v22, v2 dst_sel:DWORD dst_unused:UNUSED_PAD src0_sel:DWORD src1_sel:WORD_1
	v_lshrrev_b16_sdwa v2, v23, v2 dst_sel:DWORD dst_unused:UNUSED_PAD src0_sel:DWORD src1_sel:WORD_1
	v_ffbh_u32_e32 v23, v21
	v_min_u32_e32 v23, 32, v23
	v_subrev_u32_e32 v24, 28, v23
	v_and_b32_e32 v2, 15, v2
	v_lshlrev_b32_e32 v24, v24, v21
	v_sub_u32_e32 v23, 29, v23
	v_and_b32_e32 v24, 7, v24
	v_cmp_eq_u16_e32 vcc, 0, v2
	v_cndmask_b32_e32 v21, v21, v24, vcc
	v_cndmask_b32_e32 v2, v2, v23, vcc
	v_mov_b32_e32 v23, 0x3b800000
	v_lshlrev_b32_e32 v21, 20, v21
	v_lshlrev_b32_e32 v22, 31, v22
	v_lshl_add_u32 v2, v2, 23, v23
	v_or3_b32 v21, v22, v2, v21
.LBB4_2218:
	s_or_b64 exec, exec, s[6:7]
	s_movk_i32 s4, 0x7f
	v_cmp_gt_i16_sdwa s[6:7], v3, s4 src0_sel:BYTE_0 src1_sel:DWORD
	s_mov_b64 s[4:5], 0
                                        ; implicit-def: $sgpr10
	s_and_saveexec_b64 s[8:9], s[6:7]
	s_xor_b64 s[6:7], exec, s[8:9]
	s_cbranch_execnz .LBB4_2475
; %bb.2219:
	s_or_saveexec_b64 s[6:7], s[6:7]
	v_mov_b32_e32 v2, s10
	s_xor_b64 exec, exec, s[6:7]
	s_cbranch_execnz .LBB4_2478
.LBB4_2220:
	s_or_b64 exec, exec, s[6:7]
	s_and_saveexec_b64 s[6:7], s[4:5]
	s_cbranch_execz .LBB4_2222
.LBB4_2221:
	v_and_b32_e32 v2, 7, v3
	v_ffbh_u32_e32 v24, v2
	v_min_u32_e32 v24, 32, v24
	v_lshrrev_b16_e32 v23, 3, v3
	v_subrev_u32_e32 v25, 28, v24
	v_and_b32_e32 v23, 15, v23
	v_lshlrev_b32_e32 v25, v25, v2
	v_sub_u32_e32 v24, 29, v24
	v_and_b32_e32 v25, 7, v25
	v_cmp_eq_u16_e32 vcc, 0, v23
	v_lshrrev_b16_e32 v22, 7, v3
	v_cndmask_b32_e32 v2, v2, v25, vcc
	v_cndmask_b32_e32 v23, v23, v24, vcc
	v_mov_b32_e32 v24, 0x3b800000
	v_lshlrev_b32_e32 v2, 20, v2
	v_lshlrev_b32_e32 v22, 31, v22
	v_lshl_add_u32 v23, v23, 23, v24
	v_or3_b32 v2, v22, v23, v2
.LBB4_2222:
	s_or_b64 exec, exec, s[6:7]
	s_movk_i32 s4, 0x7f
	v_cmp_gt_i16_sdwa s[6:7], v3, s4 src0_sel:BYTE_1 src1_sel:DWORD
	s_mov_b64 s[4:5], 0
                                        ; implicit-def: $sgpr10
	s_and_saveexec_b64 s[8:9], s[6:7]
	s_xor_b64 s[6:7], exec, s[8:9]
	s_cbranch_execnz .LBB4_2479
; %bb.2223:
	s_or_saveexec_b64 s[6:7], s[6:7]
	v_mov_b32_e32 v22, s10
	s_xor_b64 exec, exec, s[6:7]
	s_cbranch_execnz .LBB4_2482
.LBB4_2224:
	s_or_b64 exec, exec, s[6:7]
	s_and_saveexec_b64 s[6:7], s[4:5]
	s_cbranch_execz .LBB4_2226
.LBB4_2225:
	v_mov_b32_e32 v22, 7
	v_and_b32_sdwa v22, v3, v22 dst_sel:DWORD dst_unused:UNUSED_PAD src0_sel:BYTE_1 src1_sel:DWORD
	v_ffbh_u32_e32 v25, v22
	v_min_u32_e32 v25, 32, v25
	v_lshrrev_b16_e32 v24, 11, v3
	v_subrev_u32_e32 v26, 28, v25
	v_and_b32_e32 v24, 15, v24
	v_lshlrev_b32_e32 v26, v26, v22
	v_sub_u32_e32 v25, 29, v25
	v_and_b32_e32 v26, 7, v26
	v_cmp_eq_u16_e32 vcc, 0, v24
	v_lshrrev_b16_e32 v23, 15, v3
	v_cndmask_b32_e32 v22, v22, v26, vcc
	v_cndmask_b32_e32 v24, v24, v25, vcc
	v_mov_b32_e32 v25, 0x3b800000
	v_lshlrev_b32_e32 v22, 20, v22
	v_lshlrev_b32_e32 v23, 31, v23
	v_lshl_add_u32 v24, v24, 23, v25
	v_or3_b32 v22, v23, v24, v22
.LBB4_2226:
	s_or_b64 exec, exec, s[6:7]
	s_movk_i32 s4, 0xff
	v_and_b32_sdwa v24, v3, s4 dst_sel:DWORD dst_unused:UNUSED_PAD src0_sel:WORD_1 src1_sel:DWORD
	s_movk_i32 s4, 0x7f
	v_cmp_lt_i16_e32 vcc, s4, v24
	s_mov_b64 s[4:5], 0
                                        ; implicit-def: $sgpr10
	s_and_saveexec_b64 s[6:7], vcc
	s_xor_b64 s[6:7], exec, s[6:7]
	s_cbranch_execnz .LBB4_2483
; %bb.2227:
	s_or_saveexec_b64 s[6:7], s[6:7]
	v_mov_b32_e32 v23, s10
	s_xor_b64 exec, exec, s[6:7]
	s_cbranch_execnz .LBB4_2486
.LBB4_2228:
	s_or_b64 exec, exec, s[6:7]
	s_and_saveexec_b64 s[6:7], s[4:5]
	s_cbranch_execz .LBB4_2230
.LBB4_2229:
	v_mov_b32_e32 v23, 7
	v_and_b32_sdwa v24, v3, v23 dst_sel:DWORD dst_unused:UNUSED_PAD src0_sel:WORD_1 src1_sel:DWORD
	v_ffbh_u32_e32 v26, v24
	v_mov_b32_e32 v25, 3
	v_min_u32_e32 v26, 32, v26
	v_lshrrev_b16_sdwa v25, v25, v3 dst_sel:DWORD dst_unused:UNUSED_PAD src0_sel:DWORD src1_sel:WORD_1
	v_subrev_u32_e32 v27, 28, v26
	v_and_b32_e32 v25, 15, v25
	v_lshlrev_b32_e32 v27, v27, v24
	v_sub_u32_e32 v26, 29, v26
	v_and_b32_e32 v27, 7, v27
	v_cmp_eq_u16_e32 vcc, 0, v25
	v_lshrrev_b16_sdwa v23, v23, v3 dst_sel:DWORD dst_unused:UNUSED_PAD src0_sel:DWORD src1_sel:WORD_1
	v_cndmask_b32_e32 v24, v24, v27, vcc
	v_cndmask_b32_e32 v25, v25, v26, vcc
	v_mov_b32_e32 v26, 0x3b800000
	v_lshlrev_b32_e32 v24, 20, v24
	v_lshlrev_b32_e32 v23, 31, v23
	v_lshl_add_u32 v25, v25, 23, v26
	v_or3_b32 v23, v23, v25, v24
.LBB4_2230:
	s_or_b64 exec, exec, s[6:7]
	v_mov_b32_e32 v24, 8
	v_lshrrev_b16_sdwa v25, v24, v3 dst_sel:DWORD dst_unused:UNUSED_PAD src0_sel:DWORD src1_sel:WORD_1
	s_movk_i32 s4, 0x7f
	v_cmp_lt_i16_e32 vcc, s4, v25
	s_mov_b64 s[4:5], 0
                                        ; implicit-def: $sgpr10
	s_and_saveexec_b64 s[6:7], vcc
	s_xor_b64 s[6:7], exec, s[6:7]
	s_cbranch_execnz .LBB4_2487
; %bb.2231:
	s_or_saveexec_b64 s[6:7], s[6:7]
	v_mov_b32_e32 v24, s10
	s_xor_b64 exec, exec, s[6:7]
	s_cbranch_execnz .LBB4_2490
.LBB4_2232:
	s_or_b64 exec, exec, s[6:7]
	s_and_saveexec_b64 s[6:7], s[4:5]
	s_cbranch_execz .LBB4_2234
.LBB4_2233:
	v_mov_b32_e32 v24, 8
	v_lshrrev_b16_sdwa v24, v24, v3 dst_sel:DWORD dst_unused:UNUSED_PAD src0_sel:DWORD src1_sel:WORD_1
	v_and_b32_e32 v24, 7, v24
	v_mov_b32_e32 v25, 15
	v_mov_b32_e32 v26, 11
	v_lshrrev_b16_sdwa v25, v25, v3 dst_sel:DWORD dst_unused:UNUSED_PAD src0_sel:DWORD src1_sel:WORD_1
	v_lshrrev_b16_sdwa v3, v26, v3 dst_sel:DWORD dst_unused:UNUSED_PAD src0_sel:DWORD src1_sel:WORD_1
	v_ffbh_u32_e32 v26, v24
	v_min_u32_e32 v26, 32, v26
	v_subrev_u32_e32 v27, 28, v26
	v_and_b32_e32 v3, 15, v3
	v_lshlrev_b32_e32 v27, v27, v24
	v_sub_u32_e32 v26, 29, v26
	v_and_b32_e32 v27, 7, v27
	v_cmp_eq_u16_e32 vcc, 0, v3
	v_cndmask_b32_e32 v24, v24, v27, vcc
	v_cndmask_b32_e32 v3, v3, v26, vcc
	v_mov_b32_e32 v26, 0x3b800000
	v_lshlrev_b32_e32 v24, 20, v24
	v_lshlrev_b32_e32 v25, 31, v25
	v_lshl_add_u32 v3, v3, 23, v26
	v_or3_b32 v24, v25, v3, v24
.LBB4_2234:
	s_or_b64 exec, exec, s[6:7]
	v_cvt_pkrtz_f16_f32 v3, v6, v7
	v_cvt_pkrtz_f16_f32 v6, v14, v15
	v_cvt_pkrtz_f16_f32 v2, v2, v22
	v_cvt_pkrtz_f16_f32 v0, v0, v16
	v_cvt_pkrtz_f16_f32 v7, v17, v18
	v_cvt_pkrtz_f16_f32 v1, v1, v19
	v_cvt_pkrtz_f16_f32 v14, v20, v21
	v_cvt_pkrtz_f16_f32 v15, v23, v24
	buffer_store_dword v6, off, s[0:3], s33 offset:132
	buffer_store_dword v3, off, s[0:3], s33 offset:128
	;; [unrolled: 1-line block ×8, first 2 shown]
	flat_load_dwordx2 v[6:7], v[102:103] offset:332
	s_nop 0
	flat_load_dword v0, v[102:103] offset:324
	s_movk_i32 s4, 0x7f
                                        ; implicit-def: $sgpr10
	s_waitcnt vmcnt(0) lgkmcnt(0)
	v_add_u32_e32 v1, 16, v7
	v_add_u32_e32 v0, v12, v0
	v_ashrrev_i32_e32 v3, 31, v1
	v_sub_u32_e32 v2, v4, v6
	v_sub_u32_e32 v6, v11, v0
	v_lshrrev_b32_e32 v0, 28, v3
	v_add_u32_e32 v0, v1, v0
	v_add_u32_e32 v4, v2, v13
	v_lshrrev_b32_e32 v2, 4, v0
	v_and_b32_e32 v0, -16, v0
	v_sub_u32_e32 v0, v1, v0
	v_add_u32_e32 v1, v6, v2
	v_xor_b32_e32 v1, v1, v10
	v_sub_u32_e32 v1, v1, v5
	v_lshlrev_b32_e32 v1, 4, v1
	v_add3_u32 v0, v4, v0, v1
	v_ashrrev_i32_e32 v1, 31, v0
	v_add_co_u32_e32 v0, vcc, v8, v0
	v_addc_co_u32_e32 v1, vcc, v9, v1, vcc
	flat_load_dwordx4 v[0:3], v[0:1]
	s_waitcnt vmcnt(0) lgkmcnt(0)
	v_cmp_gt_i16_sdwa s[6:7], v0, s4 src0_sel:BYTE_0 src1_sel:DWORD
	s_mov_b64 s[4:5], 0
	s_and_saveexec_b64 s[8:9], s[6:7]
	s_xor_b64 s[6:7], exec, s[8:9]
	s_cbranch_execnz .LBB4_2491
; %bb.2235:
	s_or_saveexec_b64 s[6:7], s[6:7]
	v_mov_b32_e32 v11, s10
	s_xor_b64 exec, exec, s[6:7]
	s_cbranch_execnz .LBB4_2494
.LBB4_2236:
	s_or_b64 exec, exec, s[6:7]
	s_and_saveexec_b64 s[6:7], s[4:5]
	s_cbranch_execz .LBB4_2238
.LBB4_2237:
	v_and_b32_e32 v11, 7, v0
	v_ffbh_u32_e32 v14, v11
	v_min_u32_e32 v14, 32, v14
	v_lshrrev_b16_e32 v13, 3, v0
	v_subrev_u32_e32 v15, 28, v14
	v_and_b32_e32 v13, 15, v13
	v_lshlrev_b32_e32 v15, v15, v11
	v_sub_u32_e32 v14, 29, v14
	v_and_b32_e32 v15, 7, v15
	v_cmp_eq_u16_e32 vcc, 0, v13
	v_lshrrev_b16_e32 v12, 7, v0
	v_cndmask_b32_e32 v11, v11, v15, vcc
	v_cndmask_b32_e32 v13, v13, v14, vcc
	v_mov_b32_e32 v14, 0x3b800000
	v_lshlrev_b32_e32 v11, 20, v11
	v_lshlrev_b32_e32 v12, 31, v12
	v_lshl_add_u32 v13, v13, 23, v14
	v_or3_b32 v11, v12, v13, v11
.LBB4_2238:
	s_or_b64 exec, exec, s[6:7]
	s_movk_i32 s4, 0x7f
	v_cmp_gt_i16_sdwa s[6:7], v0, s4 src0_sel:BYTE_1 src1_sel:DWORD
	s_mov_b64 s[4:5], 0
                                        ; implicit-def: $sgpr10
	s_and_saveexec_b64 s[8:9], s[6:7]
	s_xor_b64 s[6:7], exec, s[8:9]
	s_cbranch_execnz .LBB4_2495
; %bb.2239:
	s_or_saveexec_b64 s[6:7], s[6:7]
	v_mov_b32_e32 v12, s10
	s_xor_b64 exec, exec, s[6:7]
	s_cbranch_execnz .LBB4_2498
.LBB4_2240:
	s_or_b64 exec, exec, s[6:7]
	s_and_saveexec_b64 s[6:7], s[4:5]
	s_cbranch_execz .LBB4_2242
.LBB4_2241:
	v_mov_b32_e32 v12, 7
	v_and_b32_sdwa v12, v0, v12 dst_sel:DWORD dst_unused:UNUSED_PAD src0_sel:BYTE_1 src1_sel:DWORD
	v_ffbh_u32_e32 v15, v12
	v_min_u32_e32 v15, 32, v15
	v_lshrrev_b16_e32 v14, 11, v0
	v_subrev_u32_e32 v16, 28, v15
	v_and_b32_e32 v14, 15, v14
	v_lshlrev_b32_e32 v16, v16, v12
	v_sub_u32_e32 v15, 29, v15
	v_and_b32_e32 v16, 7, v16
	v_cmp_eq_u16_e32 vcc, 0, v14
	v_lshrrev_b16_e32 v13, 15, v0
	v_cndmask_b32_e32 v12, v12, v16, vcc
	v_cndmask_b32_e32 v14, v14, v15, vcc
	v_mov_b32_e32 v15, 0x3b800000
	v_lshlrev_b32_e32 v12, 20, v12
	v_lshlrev_b32_e32 v13, 31, v13
	v_lshl_add_u32 v14, v14, 23, v15
	v_or3_b32 v12, v13, v14, v12
.LBB4_2242:
	s_or_b64 exec, exec, s[6:7]
	s_movk_i32 s4, 0xff
	v_and_b32_sdwa v14, v0, s4 dst_sel:DWORD dst_unused:UNUSED_PAD src0_sel:WORD_1 src1_sel:DWORD
	s_movk_i32 s4, 0x7f
	v_cmp_lt_i16_e32 vcc, s4, v14
	s_mov_b64 s[4:5], 0
                                        ; implicit-def: $sgpr10
	s_and_saveexec_b64 s[6:7], vcc
	s_xor_b64 s[6:7], exec, s[6:7]
	s_cbranch_execnz .LBB4_2499
; %bb.2243:
	s_or_saveexec_b64 s[6:7], s[6:7]
	v_mov_b32_e32 v13, s10
	s_xor_b64 exec, exec, s[6:7]
	s_cbranch_execnz .LBB4_2502
.LBB4_2244:
	s_or_b64 exec, exec, s[6:7]
	s_and_saveexec_b64 s[6:7], s[4:5]
	s_cbranch_execz .LBB4_2246
.LBB4_2245:
	v_mov_b32_e32 v13, 7
	v_and_b32_sdwa v14, v0, v13 dst_sel:DWORD dst_unused:UNUSED_PAD src0_sel:WORD_1 src1_sel:DWORD
	v_ffbh_u32_e32 v16, v14
	v_mov_b32_e32 v15, 3
	v_min_u32_e32 v16, 32, v16
	v_lshrrev_b16_sdwa v15, v15, v0 dst_sel:DWORD dst_unused:UNUSED_PAD src0_sel:DWORD src1_sel:WORD_1
	v_subrev_u32_e32 v17, 28, v16
	v_and_b32_e32 v15, 15, v15
	v_lshlrev_b32_e32 v17, v17, v14
	v_sub_u32_e32 v16, 29, v16
	v_and_b32_e32 v17, 7, v17
	v_cmp_eq_u16_e32 vcc, 0, v15
	v_lshrrev_b16_sdwa v13, v13, v0 dst_sel:DWORD dst_unused:UNUSED_PAD src0_sel:DWORD src1_sel:WORD_1
	v_cndmask_b32_e32 v14, v14, v17, vcc
	v_cndmask_b32_e32 v15, v15, v16, vcc
	v_mov_b32_e32 v16, 0x3b800000
	v_lshlrev_b32_e32 v14, 20, v14
	v_lshlrev_b32_e32 v13, 31, v13
	v_lshl_add_u32 v15, v15, 23, v16
	v_or3_b32 v13, v13, v15, v14
.LBB4_2246:
	s_or_b64 exec, exec, s[6:7]
	v_mov_b32_e32 v14, 8
	v_lshrrev_b16_sdwa v15, v14, v0 dst_sel:DWORD dst_unused:UNUSED_PAD src0_sel:DWORD src1_sel:WORD_1
	s_movk_i32 s4, 0x7f
	v_cmp_lt_i16_e32 vcc, s4, v15
	s_mov_b64 s[4:5], 0
                                        ; implicit-def: $sgpr10
	s_and_saveexec_b64 s[6:7], vcc
	s_xor_b64 s[6:7], exec, s[6:7]
	s_cbranch_execnz .LBB4_2503
; %bb.2247:
	s_or_saveexec_b64 s[6:7], s[6:7]
	v_mov_b32_e32 v14, s10
	s_xor_b64 exec, exec, s[6:7]
	s_cbranch_execnz .LBB4_2506
.LBB4_2248:
	s_or_b64 exec, exec, s[6:7]
	s_and_saveexec_b64 s[6:7], s[4:5]
	s_cbranch_execz .LBB4_2250
.LBB4_2249:
	v_mov_b32_e32 v14, 8
	v_lshrrev_b16_sdwa v14, v14, v0 dst_sel:DWORD dst_unused:UNUSED_PAD src0_sel:DWORD src1_sel:WORD_1
	v_and_b32_e32 v14, 7, v14
	v_mov_b32_e32 v15, 15
	v_mov_b32_e32 v16, 11
	v_lshrrev_b16_sdwa v15, v15, v0 dst_sel:DWORD dst_unused:UNUSED_PAD src0_sel:DWORD src1_sel:WORD_1
	v_lshrrev_b16_sdwa v0, v16, v0 dst_sel:DWORD dst_unused:UNUSED_PAD src0_sel:DWORD src1_sel:WORD_1
	v_ffbh_u32_e32 v16, v14
	v_min_u32_e32 v16, 32, v16
	v_subrev_u32_e32 v17, 28, v16
	v_and_b32_e32 v0, 15, v0
	v_lshlrev_b32_e32 v17, v17, v14
	v_sub_u32_e32 v16, 29, v16
	v_and_b32_e32 v17, 7, v17
	v_cmp_eq_u16_e32 vcc, 0, v0
	v_cndmask_b32_e32 v14, v14, v17, vcc
	v_cndmask_b32_e32 v0, v0, v16, vcc
	v_mov_b32_e32 v16, 0x3b800000
	v_lshlrev_b32_e32 v14, 20, v14
	v_lshlrev_b32_e32 v15, 31, v15
	v_lshl_add_u32 v0, v0, 23, v16
	v_or3_b32 v14, v15, v0, v14
.LBB4_2250:
	s_or_b64 exec, exec, s[6:7]
	s_movk_i32 s4, 0x7f
	v_cmp_gt_i16_sdwa s[6:7], v1, s4 src0_sel:BYTE_0 src1_sel:DWORD
	s_mov_b64 s[4:5], 0
                                        ; implicit-def: $sgpr10
	s_and_saveexec_b64 s[8:9], s[6:7]
	s_xor_b64 s[6:7], exec, s[8:9]
	s_cbranch_execnz .LBB4_2507
; %bb.2251:
	s_or_saveexec_b64 s[6:7], s[6:7]
	v_mov_b32_e32 v0, s10
	s_xor_b64 exec, exec, s[6:7]
	s_cbranch_execnz .LBB4_2510
.LBB4_2252:
	s_or_b64 exec, exec, s[6:7]
	s_and_saveexec_b64 s[6:7], s[4:5]
	s_cbranch_execz .LBB4_2254
.LBB4_2253:
	v_and_b32_e32 v0, 7, v1
	v_ffbh_u32_e32 v17, v0
	v_min_u32_e32 v17, 32, v17
	v_lshrrev_b16_e32 v16, 3, v1
	v_subrev_u32_e32 v18, 28, v17
	v_and_b32_e32 v16, 15, v16
	v_lshlrev_b32_e32 v18, v18, v0
	v_sub_u32_e32 v17, 29, v17
	v_and_b32_e32 v18, 7, v18
	v_cmp_eq_u16_e32 vcc, 0, v16
	v_lshrrev_b16_e32 v15, 7, v1
	v_cndmask_b32_e32 v0, v0, v18, vcc
	v_cndmask_b32_e32 v16, v16, v17, vcc
	v_mov_b32_e32 v17, 0x3b800000
	v_lshlrev_b32_e32 v0, 20, v0
	v_lshlrev_b32_e32 v15, 31, v15
	v_lshl_add_u32 v16, v16, 23, v17
	v_or3_b32 v0, v15, v16, v0
.LBB4_2254:
	s_or_b64 exec, exec, s[6:7]
	s_movk_i32 s4, 0x7f
	v_cmp_gt_i16_sdwa s[6:7], v1, s4 src0_sel:BYTE_1 src1_sel:DWORD
	s_mov_b64 s[4:5], 0
                                        ; implicit-def: $sgpr10
	s_and_saveexec_b64 s[8:9], s[6:7]
	s_xor_b64 s[6:7], exec, s[8:9]
	s_cbranch_execnz .LBB4_2511
; %bb.2255:
	s_or_saveexec_b64 s[6:7], s[6:7]
	v_mov_b32_e32 v15, s10
	s_xor_b64 exec, exec, s[6:7]
	s_cbranch_execnz .LBB4_2514
.LBB4_2256:
	s_or_b64 exec, exec, s[6:7]
	s_and_saveexec_b64 s[6:7], s[4:5]
	s_cbranch_execz .LBB4_2258
.LBB4_2257:
	v_mov_b32_e32 v15, 7
	v_and_b32_sdwa v15, v1, v15 dst_sel:DWORD dst_unused:UNUSED_PAD src0_sel:BYTE_1 src1_sel:DWORD
	v_ffbh_u32_e32 v18, v15
	v_min_u32_e32 v18, 32, v18
	v_lshrrev_b16_e32 v17, 11, v1
	v_subrev_u32_e32 v19, 28, v18
	v_and_b32_e32 v17, 15, v17
	v_lshlrev_b32_e32 v19, v19, v15
	v_sub_u32_e32 v18, 29, v18
	v_and_b32_e32 v19, 7, v19
	v_cmp_eq_u16_e32 vcc, 0, v17
	v_lshrrev_b16_e32 v16, 15, v1
	v_cndmask_b32_e32 v15, v15, v19, vcc
	v_cndmask_b32_e32 v17, v17, v18, vcc
	v_mov_b32_e32 v18, 0x3b800000
	v_lshlrev_b32_e32 v15, 20, v15
	v_lshlrev_b32_e32 v16, 31, v16
	v_lshl_add_u32 v17, v17, 23, v18
	v_or3_b32 v15, v16, v17, v15
.LBB4_2258:
	s_or_b64 exec, exec, s[6:7]
	s_movk_i32 s4, 0xff
	v_and_b32_sdwa v17, v1, s4 dst_sel:DWORD dst_unused:UNUSED_PAD src0_sel:WORD_1 src1_sel:DWORD
	s_movk_i32 s4, 0x7f
	v_cmp_lt_i16_e32 vcc, s4, v17
	s_mov_b64 s[4:5], 0
                                        ; implicit-def: $sgpr10
	s_and_saveexec_b64 s[6:7], vcc
	s_xor_b64 s[6:7], exec, s[6:7]
	s_cbranch_execnz .LBB4_2515
; %bb.2259:
	s_or_saveexec_b64 s[6:7], s[6:7]
	v_mov_b32_e32 v16, s10
	s_xor_b64 exec, exec, s[6:7]
	s_cbranch_execnz .LBB4_2518
.LBB4_2260:
	s_or_b64 exec, exec, s[6:7]
	s_and_saveexec_b64 s[6:7], s[4:5]
	s_cbranch_execz .LBB4_2262
.LBB4_2261:
	v_mov_b32_e32 v16, 7
	v_and_b32_sdwa v17, v1, v16 dst_sel:DWORD dst_unused:UNUSED_PAD src0_sel:WORD_1 src1_sel:DWORD
	v_ffbh_u32_e32 v19, v17
	v_mov_b32_e32 v18, 3
	v_min_u32_e32 v19, 32, v19
	v_lshrrev_b16_sdwa v18, v18, v1 dst_sel:DWORD dst_unused:UNUSED_PAD src0_sel:DWORD src1_sel:WORD_1
	v_subrev_u32_e32 v20, 28, v19
	v_and_b32_e32 v18, 15, v18
	v_lshlrev_b32_e32 v20, v20, v17
	v_sub_u32_e32 v19, 29, v19
	v_and_b32_e32 v20, 7, v20
	v_cmp_eq_u16_e32 vcc, 0, v18
	v_lshrrev_b16_sdwa v16, v16, v1 dst_sel:DWORD dst_unused:UNUSED_PAD src0_sel:DWORD src1_sel:WORD_1
	v_cndmask_b32_e32 v17, v17, v20, vcc
	v_cndmask_b32_e32 v18, v18, v19, vcc
	v_mov_b32_e32 v19, 0x3b800000
	v_lshlrev_b32_e32 v17, 20, v17
	v_lshlrev_b32_e32 v16, 31, v16
	v_lshl_add_u32 v18, v18, 23, v19
	v_or3_b32 v16, v16, v18, v17
.LBB4_2262:
	s_or_b64 exec, exec, s[6:7]
	v_mov_b32_e32 v17, 8
	v_lshrrev_b16_sdwa v18, v17, v1 dst_sel:DWORD dst_unused:UNUSED_PAD src0_sel:DWORD src1_sel:WORD_1
	s_movk_i32 s4, 0x7f
	v_cmp_lt_i16_e32 vcc, s4, v18
	s_mov_b64 s[4:5], 0
                                        ; implicit-def: $sgpr10
	s_and_saveexec_b64 s[6:7], vcc
	s_xor_b64 s[6:7], exec, s[6:7]
	s_cbranch_execnz .LBB4_2519
; %bb.2263:
	s_or_saveexec_b64 s[6:7], s[6:7]
	v_mov_b32_e32 v17, s10
	s_xor_b64 exec, exec, s[6:7]
	s_cbranch_execnz .LBB4_2522
.LBB4_2264:
	s_or_b64 exec, exec, s[6:7]
	s_and_saveexec_b64 s[6:7], s[4:5]
	s_cbranch_execz .LBB4_2266
.LBB4_2265:
	v_mov_b32_e32 v17, 8
	v_lshrrev_b16_sdwa v17, v17, v1 dst_sel:DWORD dst_unused:UNUSED_PAD src0_sel:DWORD src1_sel:WORD_1
	v_and_b32_e32 v17, 7, v17
	v_mov_b32_e32 v18, 15
	v_mov_b32_e32 v19, 11
	v_lshrrev_b16_sdwa v18, v18, v1 dst_sel:DWORD dst_unused:UNUSED_PAD src0_sel:DWORD src1_sel:WORD_1
	v_lshrrev_b16_sdwa v1, v19, v1 dst_sel:DWORD dst_unused:UNUSED_PAD src0_sel:DWORD src1_sel:WORD_1
	v_ffbh_u32_e32 v19, v17
	v_min_u32_e32 v19, 32, v19
	v_subrev_u32_e32 v20, 28, v19
	v_and_b32_e32 v1, 15, v1
	v_lshlrev_b32_e32 v20, v20, v17
	v_sub_u32_e32 v19, 29, v19
	v_and_b32_e32 v20, 7, v20
	v_cmp_eq_u16_e32 vcc, 0, v1
	v_cndmask_b32_e32 v17, v17, v20, vcc
	v_cndmask_b32_e32 v1, v1, v19, vcc
	v_mov_b32_e32 v19, 0x3b800000
	v_lshlrev_b32_e32 v17, 20, v17
	v_lshlrev_b32_e32 v18, 31, v18
	v_lshl_add_u32 v1, v1, 23, v19
	v_or3_b32 v17, v18, v1, v17
.LBB4_2266:
	s_or_b64 exec, exec, s[6:7]
	s_movk_i32 s4, 0x7f
	v_cmp_gt_i16_sdwa s[6:7], v2, s4 src0_sel:BYTE_0 src1_sel:DWORD
	s_mov_b64 s[4:5], 0
                                        ; implicit-def: $sgpr10
	s_and_saveexec_b64 s[8:9], s[6:7]
	s_xor_b64 s[6:7], exec, s[8:9]
	s_cbranch_execnz .LBB4_2523
; %bb.2267:
	s_or_saveexec_b64 s[6:7], s[6:7]
	v_mov_b32_e32 v1, s10
	s_xor_b64 exec, exec, s[6:7]
	s_cbranch_execnz .LBB4_2526
.LBB4_2268:
	s_or_b64 exec, exec, s[6:7]
	s_and_saveexec_b64 s[6:7], s[4:5]
	s_cbranch_execz .LBB4_2270
.LBB4_2269:
	v_and_b32_e32 v1, 7, v2
	v_ffbh_u32_e32 v20, v1
	v_min_u32_e32 v20, 32, v20
	v_lshrrev_b16_e32 v19, 3, v2
	v_subrev_u32_e32 v21, 28, v20
	v_and_b32_e32 v19, 15, v19
	v_lshlrev_b32_e32 v21, v21, v1
	v_sub_u32_e32 v20, 29, v20
	v_and_b32_e32 v21, 7, v21
	v_cmp_eq_u16_e32 vcc, 0, v19
	v_lshrrev_b16_e32 v18, 7, v2
	v_cndmask_b32_e32 v1, v1, v21, vcc
	v_cndmask_b32_e32 v19, v19, v20, vcc
	v_mov_b32_e32 v20, 0x3b800000
	v_lshlrev_b32_e32 v1, 20, v1
	v_lshlrev_b32_e32 v18, 31, v18
	v_lshl_add_u32 v19, v19, 23, v20
	v_or3_b32 v1, v18, v19, v1
.LBB4_2270:
	s_or_b64 exec, exec, s[6:7]
	s_movk_i32 s4, 0x7f
	v_cmp_gt_i16_sdwa s[6:7], v2, s4 src0_sel:BYTE_1 src1_sel:DWORD
	s_mov_b64 s[4:5], 0
                                        ; implicit-def: $sgpr10
	s_and_saveexec_b64 s[8:9], s[6:7]
	s_xor_b64 s[6:7], exec, s[8:9]
	s_cbranch_execnz .LBB4_2527
; %bb.2271:
	s_or_saveexec_b64 s[6:7], s[6:7]
	v_mov_b32_e32 v18, s10
	s_xor_b64 exec, exec, s[6:7]
	s_cbranch_execnz .LBB4_2530
.LBB4_2272:
	s_or_b64 exec, exec, s[6:7]
	s_and_saveexec_b64 s[6:7], s[4:5]
	s_cbranch_execz .LBB4_2274
.LBB4_2273:
	v_mov_b32_e32 v18, 7
	v_and_b32_sdwa v18, v2, v18 dst_sel:DWORD dst_unused:UNUSED_PAD src0_sel:BYTE_1 src1_sel:DWORD
	v_ffbh_u32_e32 v21, v18
	v_min_u32_e32 v21, 32, v21
	v_lshrrev_b16_e32 v20, 11, v2
	v_subrev_u32_e32 v22, 28, v21
	v_and_b32_e32 v20, 15, v20
	v_lshlrev_b32_e32 v22, v22, v18
	v_sub_u32_e32 v21, 29, v21
	v_and_b32_e32 v22, 7, v22
	v_cmp_eq_u16_e32 vcc, 0, v20
	v_lshrrev_b16_e32 v19, 15, v2
	v_cndmask_b32_e32 v18, v18, v22, vcc
	v_cndmask_b32_e32 v20, v20, v21, vcc
	v_mov_b32_e32 v21, 0x3b800000
	v_lshlrev_b32_e32 v18, 20, v18
	v_lshlrev_b32_e32 v19, 31, v19
	v_lshl_add_u32 v20, v20, 23, v21
	v_or3_b32 v18, v19, v20, v18
.LBB4_2274:
	s_or_b64 exec, exec, s[6:7]
	s_movk_i32 s4, 0xff
	v_and_b32_sdwa v20, v2, s4 dst_sel:DWORD dst_unused:UNUSED_PAD src0_sel:WORD_1 src1_sel:DWORD
	s_movk_i32 s4, 0x7f
	v_cmp_lt_i16_e32 vcc, s4, v20
	s_mov_b64 s[4:5], 0
                                        ; implicit-def: $sgpr10
	s_and_saveexec_b64 s[6:7], vcc
	s_xor_b64 s[6:7], exec, s[6:7]
	s_cbranch_execnz .LBB4_2531
; %bb.2275:
	s_or_saveexec_b64 s[6:7], s[6:7]
	v_mov_b32_e32 v19, s10
	s_xor_b64 exec, exec, s[6:7]
	s_cbranch_execnz .LBB4_2534
.LBB4_2276:
	s_or_b64 exec, exec, s[6:7]
	s_and_saveexec_b64 s[6:7], s[4:5]
	s_cbranch_execz .LBB4_2278
.LBB4_2277:
	v_mov_b32_e32 v19, 7
	v_and_b32_sdwa v20, v2, v19 dst_sel:DWORD dst_unused:UNUSED_PAD src0_sel:WORD_1 src1_sel:DWORD
	v_ffbh_u32_e32 v22, v20
	v_mov_b32_e32 v21, 3
	v_min_u32_e32 v22, 32, v22
	v_lshrrev_b16_sdwa v21, v21, v2 dst_sel:DWORD dst_unused:UNUSED_PAD src0_sel:DWORD src1_sel:WORD_1
	v_subrev_u32_e32 v23, 28, v22
	v_and_b32_e32 v21, 15, v21
	v_lshlrev_b32_e32 v23, v23, v20
	v_sub_u32_e32 v22, 29, v22
	v_and_b32_e32 v23, 7, v23
	v_cmp_eq_u16_e32 vcc, 0, v21
	v_lshrrev_b16_sdwa v19, v19, v2 dst_sel:DWORD dst_unused:UNUSED_PAD src0_sel:DWORD src1_sel:WORD_1
	v_cndmask_b32_e32 v20, v20, v23, vcc
	v_cndmask_b32_e32 v21, v21, v22, vcc
	v_mov_b32_e32 v22, 0x3b800000
	v_lshlrev_b32_e32 v20, 20, v20
	v_lshlrev_b32_e32 v19, 31, v19
	v_lshl_add_u32 v21, v21, 23, v22
	v_or3_b32 v19, v19, v21, v20
.LBB4_2278:
	s_or_b64 exec, exec, s[6:7]
	v_mov_b32_e32 v20, 8
	v_lshrrev_b16_sdwa v21, v20, v2 dst_sel:DWORD dst_unused:UNUSED_PAD src0_sel:DWORD src1_sel:WORD_1
	s_movk_i32 s4, 0x7f
	v_cmp_lt_i16_e32 vcc, s4, v21
	s_mov_b64 s[4:5], 0
                                        ; implicit-def: $sgpr10
	s_and_saveexec_b64 s[6:7], vcc
	s_xor_b64 s[6:7], exec, s[6:7]
	s_cbranch_execnz .LBB4_2535
; %bb.2279:
	s_or_saveexec_b64 s[6:7], s[6:7]
	v_mov_b32_e32 v20, s10
	s_xor_b64 exec, exec, s[6:7]
	s_cbranch_execnz .LBB4_2538
.LBB4_2280:
	s_or_b64 exec, exec, s[6:7]
	s_and_saveexec_b64 s[6:7], s[4:5]
	s_cbranch_execz .LBB4_2282
.LBB4_2281:
	v_mov_b32_e32 v20, 8
	v_lshrrev_b16_sdwa v20, v20, v2 dst_sel:DWORD dst_unused:UNUSED_PAD src0_sel:DWORD src1_sel:WORD_1
	v_and_b32_e32 v20, 7, v20
	v_mov_b32_e32 v21, 15
	v_mov_b32_e32 v22, 11
	v_lshrrev_b16_sdwa v21, v21, v2 dst_sel:DWORD dst_unused:UNUSED_PAD src0_sel:DWORD src1_sel:WORD_1
	v_lshrrev_b16_sdwa v2, v22, v2 dst_sel:DWORD dst_unused:UNUSED_PAD src0_sel:DWORD src1_sel:WORD_1
	v_ffbh_u32_e32 v22, v20
	v_min_u32_e32 v22, 32, v22
	v_subrev_u32_e32 v23, 28, v22
	v_and_b32_e32 v2, 15, v2
	v_lshlrev_b32_e32 v23, v23, v20
	v_sub_u32_e32 v22, 29, v22
	v_and_b32_e32 v23, 7, v23
	v_cmp_eq_u16_e32 vcc, 0, v2
	v_cndmask_b32_e32 v20, v20, v23, vcc
	v_cndmask_b32_e32 v2, v2, v22, vcc
	v_mov_b32_e32 v22, 0x3b800000
	v_lshlrev_b32_e32 v20, 20, v20
	v_lshlrev_b32_e32 v21, 31, v21
	v_lshl_add_u32 v2, v2, 23, v22
	v_or3_b32 v20, v21, v2, v20
.LBB4_2282:
	s_or_b64 exec, exec, s[6:7]
	s_movk_i32 s4, 0x7f
	v_cmp_gt_i16_sdwa s[6:7], v3, s4 src0_sel:BYTE_0 src1_sel:DWORD
	s_mov_b64 s[4:5], 0
                                        ; implicit-def: $sgpr10
	s_and_saveexec_b64 s[8:9], s[6:7]
	s_xor_b64 s[6:7], exec, s[8:9]
	s_cbranch_execnz .LBB4_2539
; %bb.2283:
	s_or_saveexec_b64 s[6:7], s[6:7]
	v_mov_b32_e32 v2, s10
	s_xor_b64 exec, exec, s[6:7]
	s_cbranch_execnz .LBB4_2542
.LBB4_2284:
	s_or_b64 exec, exec, s[6:7]
	s_and_saveexec_b64 s[6:7], s[4:5]
	s_cbranch_execz .LBB4_2286
.LBB4_2285:
	v_and_b32_e32 v2, 7, v3
	v_ffbh_u32_e32 v23, v2
	v_min_u32_e32 v23, 32, v23
	v_lshrrev_b16_e32 v22, 3, v3
	v_subrev_u32_e32 v24, 28, v23
	v_and_b32_e32 v22, 15, v22
	v_lshlrev_b32_e32 v24, v24, v2
	v_sub_u32_e32 v23, 29, v23
	v_and_b32_e32 v24, 7, v24
	v_cmp_eq_u16_e32 vcc, 0, v22
	v_lshrrev_b16_e32 v21, 7, v3
	v_cndmask_b32_e32 v2, v2, v24, vcc
	v_cndmask_b32_e32 v22, v22, v23, vcc
	v_mov_b32_e32 v23, 0x3b800000
	v_lshlrev_b32_e32 v2, 20, v2
	v_lshlrev_b32_e32 v21, 31, v21
	v_lshl_add_u32 v22, v22, 23, v23
	v_or3_b32 v2, v21, v22, v2
.LBB4_2286:
	s_or_b64 exec, exec, s[6:7]
	s_movk_i32 s4, 0x7f
	v_cmp_gt_i16_sdwa s[6:7], v3, s4 src0_sel:BYTE_1 src1_sel:DWORD
	s_mov_b64 s[4:5], 0
                                        ; implicit-def: $sgpr10
	s_and_saveexec_b64 s[8:9], s[6:7]
	s_xor_b64 s[6:7], exec, s[8:9]
	s_cbranch_execnz .LBB4_2543
; %bb.2287:
	s_or_saveexec_b64 s[6:7], s[6:7]
	v_mov_b32_e32 v21, s10
	s_xor_b64 exec, exec, s[6:7]
	s_cbranch_execnz .LBB4_2546
.LBB4_2288:
	s_or_b64 exec, exec, s[6:7]
	s_and_saveexec_b64 s[6:7], s[4:5]
	s_cbranch_execz .LBB4_2290
.LBB4_2289:
	v_mov_b32_e32 v21, 7
	v_and_b32_sdwa v21, v3, v21 dst_sel:DWORD dst_unused:UNUSED_PAD src0_sel:BYTE_1 src1_sel:DWORD
	v_ffbh_u32_e32 v24, v21
	v_min_u32_e32 v24, 32, v24
	v_lshrrev_b16_e32 v23, 11, v3
	v_subrev_u32_e32 v25, 28, v24
	v_and_b32_e32 v23, 15, v23
	v_lshlrev_b32_e32 v25, v25, v21
	v_sub_u32_e32 v24, 29, v24
	v_and_b32_e32 v25, 7, v25
	v_cmp_eq_u16_e32 vcc, 0, v23
	v_lshrrev_b16_e32 v22, 15, v3
	v_cndmask_b32_e32 v21, v21, v25, vcc
	v_cndmask_b32_e32 v23, v23, v24, vcc
	v_mov_b32_e32 v24, 0x3b800000
	v_lshlrev_b32_e32 v21, 20, v21
	v_lshlrev_b32_e32 v22, 31, v22
	v_lshl_add_u32 v23, v23, 23, v24
	v_or3_b32 v21, v22, v23, v21
.LBB4_2290:
	s_or_b64 exec, exec, s[6:7]
	s_movk_i32 s4, 0xff
	v_and_b32_sdwa v23, v3, s4 dst_sel:DWORD dst_unused:UNUSED_PAD src0_sel:WORD_1 src1_sel:DWORD
	s_movk_i32 s4, 0x7f
	v_cmp_lt_i16_e32 vcc, s4, v23
	s_mov_b64 s[4:5], 0
                                        ; implicit-def: $sgpr10
	s_and_saveexec_b64 s[6:7], vcc
	s_xor_b64 s[6:7], exec, s[6:7]
	s_cbranch_execnz .LBB4_2547
; %bb.2291:
	s_or_saveexec_b64 s[6:7], s[6:7]
	v_mov_b32_e32 v22, s10
	s_xor_b64 exec, exec, s[6:7]
	s_cbranch_execnz .LBB4_2550
.LBB4_2292:
	s_or_b64 exec, exec, s[6:7]
	s_and_saveexec_b64 s[6:7], s[4:5]
	s_cbranch_execz .LBB4_2294
.LBB4_2293:
	v_mov_b32_e32 v22, 7
	v_and_b32_sdwa v23, v3, v22 dst_sel:DWORD dst_unused:UNUSED_PAD src0_sel:WORD_1 src1_sel:DWORD
	v_ffbh_u32_e32 v25, v23
	v_mov_b32_e32 v24, 3
	v_min_u32_e32 v25, 32, v25
	v_lshrrev_b16_sdwa v24, v24, v3 dst_sel:DWORD dst_unused:UNUSED_PAD src0_sel:DWORD src1_sel:WORD_1
	v_subrev_u32_e32 v26, 28, v25
	v_and_b32_e32 v24, 15, v24
	v_lshlrev_b32_e32 v26, v26, v23
	v_sub_u32_e32 v25, 29, v25
	v_and_b32_e32 v26, 7, v26
	v_cmp_eq_u16_e32 vcc, 0, v24
	v_lshrrev_b16_sdwa v22, v22, v3 dst_sel:DWORD dst_unused:UNUSED_PAD src0_sel:DWORD src1_sel:WORD_1
	v_cndmask_b32_e32 v23, v23, v26, vcc
	v_cndmask_b32_e32 v24, v24, v25, vcc
	v_mov_b32_e32 v25, 0x3b800000
	v_lshlrev_b32_e32 v23, 20, v23
	v_lshlrev_b32_e32 v22, 31, v22
	v_lshl_add_u32 v24, v24, 23, v25
	v_or3_b32 v22, v22, v24, v23
.LBB4_2294:
	s_or_b64 exec, exec, s[6:7]
	v_mov_b32_e32 v23, 8
	v_lshrrev_b16_sdwa v24, v23, v3 dst_sel:DWORD dst_unused:UNUSED_PAD src0_sel:DWORD src1_sel:WORD_1
	s_movk_i32 s4, 0x7f
	v_cmp_lt_i16_e32 vcc, s4, v24
	s_mov_b64 s[4:5], 0
                                        ; implicit-def: $sgpr10
	s_and_saveexec_b64 s[6:7], vcc
	s_xor_b64 s[6:7], exec, s[6:7]
	s_cbranch_execnz .LBB4_2551
; %bb.2295:
	s_or_saveexec_b64 s[6:7], s[6:7]
	v_mov_b32_e32 v23, s10
	s_xor_b64 exec, exec, s[6:7]
	s_cbranch_execnz .LBB4_2554
.LBB4_2296:
	s_or_b64 exec, exec, s[6:7]
	s_and_saveexec_b64 s[6:7], s[4:5]
	s_cbranch_execz .LBB4_2298
.LBB4_2297:
	v_mov_b32_e32 v23, 8
	v_lshrrev_b16_sdwa v23, v23, v3 dst_sel:DWORD dst_unused:UNUSED_PAD src0_sel:DWORD src1_sel:WORD_1
	v_and_b32_e32 v23, 7, v23
	v_mov_b32_e32 v24, 15
	v_mov_b32_e32 v25, 11
	v_lshrrev_b16_sdwa v24, v24, v3 dst_sel:DWORD dst_unused:UNUSED_PAD src0_sel:DWORD src1_sel:WORD_1
	v_lshrrev_b16_sdwa v3, v25, v3 dst_sel:DWORD dst_unused:UNUSED_PAD src0_sel:DWORD src1_sel:WORD_1
	v_ffbh_u32_e32 v25, v23
	v_min_u32_e32 v25, 32, v25
	v_subrev_u32_e32 v26, 28, v25
	v_and_b32_e32 v3, 15, v3
	v_lshlrev_b32_e32 v26, v26, v23
	v_sub_u32_e32 v25, 29, v25
	v_and_b32_e32 v26, 7, v26
	v_cmp_eq_u16_e32 vcc, 0, v3
	v_cndmask_b32_e32 v23, v23, v26, vcc
	v_cndmask_b32_e32 v3, v3, v25, vcc
	v_mov_b32_e32 v25, 0x3b800000
	v_lshlrev_b32_e32 v23, 20, v23
	v_lshlrev_b32_e32 v24, 31, v24
	v_lshl_add_u32 v3, v3, 23, v25
	v_or3_b32 v23, v24, v3, v23
.LBB4_2298:
	s_or_b64 exec, exec, s[6:7]
	v_cvt_pkrtz_f16_f32 v3, v11, v12
	v_cvt_pkrtz_f16_f32 v11, v13, v14
	;; [unrolled: 1-line block ×8, first 2 shown]
	buffer_store_dword v11, off, s[0:3], s33 offset:164
	buffer_store_dword v3, off, s[0:3], s33 offset:160
	;; [unrolled: 1-line block ×8, first 2 shown]
	v_add_u32_e32 v0, 32, v7
	v_ashrrev_i32_e32 v1, 31, v0
	v_lshrrev_b32_e32 v1, 28, v1
	v_add_u32_e32 v1, v0, v1
	v_lshrrev_b32_e32 v2, 4, v1
	v_and_b32_e32 v1, -16, v1
	v_sub_u32_e32 v0, v0, v1
	v_add_u32_e32 v1, v6, v2
	v_xor_b32_e32 v1, v1, v10
	v_sub_u32_e32 v1, v1, v5
	v_lshlrev_b32_e32 v1, 4, v1
	v_add3_u32 v0, v4, v0, v1
	v_ashrrev_i32_e32 v1, 31, v0
	v_add_co_u32_e32 v0, vcc, v8, v0
	v_addc_co_u32_e32 v1, vcc, v9, v1, vcc
	flat_load_dwordx4 v[0:3], v[0:1]
	s_movk_i32 s4, 0x7f
                                        ; implicit-def: $sgpr10
	s_waitcnt vmcnt(0) lgkmcnt(0)
	v_cmp_gt_i16_sdwa s[6:7], v0, s4 src0_sel:BYTE_0 src1_sel:DWORD
	s_mov_b64 s[4:5], 0
	s_and_saveexec_b64 s[8:9], s[6:7]
	s_xor_b64 s[6:7], exec, s[8:9]
	s_cbranch_execnz .LBB4_2555
; %bb.2299:
	s_or_saveexec_b64 s[6:7], s[6:7]
	v_mov_b32_e32 v11, s10
	s_xor_b64 exec, exec, s[6:7]
	s_cbranch_execnz .LBB4_2558
.LBB4_2300:
	s_or_b64 exec, exec, s[6:7]
	s_and_saveexec_b64 s[6:7], s[4:5]
	s_cbranch_execz .LBB4_2302
.LBB4_2301:
	v_and_b32_e32 v11, 7, v0
	v_ffbh_u32_e32 v14, v11
	v_min_u32_e32 v14, 32, v14
	v_lshrrev_b16_e32 v13, 3, v0
	v_subrev_u32_e32 v15, 28, v14
	v_and_b32_e32 v13, 15, v13
	v_lshlrev_b32_e32 v15, v15, v11
	v_sub_u32_e32 v14, 29, v14
	v_and_b32_e32 v15, 7, v15
	v_cmp_eq_u16_e32 vcc, 0, v13
	v_lshrrev_b16_e32 v12, 7, v0
	v_cndmask_b32_e32 v11, v11, v15, vcc
	v_cndmask_b32_e32 v13, v13, v14, vcc
	v_mov_b32_e32 v14, 0x3b800000
	v_lshlrev_b32_e32 v11, 20, v11
	v_lshlrev_b32_e32 v12, 31, v12
	v_lshl_add_u32 v13, v13, 23, v14
	v_or3_b32 v11, v12, v13, v11
.LBB4_2302:
	s_or_b64 exec, exec, s[6:7]
	s_movk_i32 s4, 0x7f
	v_cmp_gt_i16_sdwa s[6:7], v0, s4 src0_sel:BYTE_1 src1_sel:DWORD
	s_mov_b64 s[4:5], 0
                                        ; implicit-def: $sgpr10
	s_and_saveexec_b64 s[8:9], s[6:7]
	s_xor_b64 s[6:7], exec, s[8:9]
	s_cbranch_execnz .LBB4_2559
; %bb.2303:
	s_or_saveexec_b64 s[6:7], s[6:7]
	v_mov_b32_e32 v12, s10
	s_xor_b64 exec, exec, s[6:7]
	s_cbranch_execnz .LBB4_2562
.LBB4_2304:
	s_or_b64 exec, exec, s[6:7]
	s_and_saveexec_b64 s[6:7], s[4:5]
	s_cbranch_execz .LBB4_2306
.LBB4_2305:
	v_mov_b32_e32 v12, 7
	v_and_b32_sdwa v12, v0, v12 dst_sel:DWORD dst_unused:UNUSED_PAD src0_sel:BYTE_1 src1_sel:DWORD
	v_ffbh_u32_e32 v15, v12
	v_min_u32_e32 v15, 32, v15
	v_lshrrev_b16_e32 v14, 11, v0
	v_subrev_u32_e32 v16, 28, v15
	v_and_b32_e32 v14, 15, v14
	v_lshlrev_b32_e32 v16, v16, v12
	v_sub_u32_e32 v15, 29, v15
	v_and_b32_e32 v16, 7, v16
	v_cmp_eq_u16_e32 vcc, 0, v14
	v_lshrrev_b16_e32 v13, 15, v0
	v_cndmask_b32_e32 v12, v12, v16, vcc
	v_cndmask_b32_e32 v14, v14, v15, vcc
	v_mov_b32_e32 v15, 0x3b800000
	v_lshlrev_b32_e32 v12, 20, v12
	v_lshlrev_b32_e32 v13, 31, v13
	v_lshl_add_u32 v14, v14, 23, v15
	v_or3_b32 v12, v13, v14, v12
.LBB4_2306:
	s_or_b64 exec, exec, s[6:7]
	s_movk_i32 s4, 0xff
	v_and_b32_sdwa v14, v0, s4 dst_sel:DWORD dst_unused:UNUSED_PAD src0_sel:WORD_1 src1_sel:DWORD
	s_movk_i32 s4, 0x7f
	v_cmp_lt_i16_e32 vcc, s4, v14
	s_mov_b64 s[4:5], 0
                                        ; implicit-def: $sgpr10
	s_and_saveexec_b64 s[6:7], vcc
	s_xor_b64 s[6:7], exec, s[6:7]
	s_cbranch_execnz .LBB4_2563
; %bb.2307:
	s_or_saveexec_b64 s[6:7], s[6:7]
	v_mov_b32_e32 v13, s10
	s_xor_b64 exec, exec, s[6:7]
	s_cbranch_execnz .LBB4_2566
.LBB4_2308:
	s_or_b64 exec, exec, s[6:7]
	s_and_saveexec_b64 s[6:7], s[4:5]
	s_cbranch_execz .LBB4_2310
.LBB4_2309:
	v_mov_b32_e32 v13, 7
	v_and_b32_sdwa v14, v0, v13 dst_sel:DWORD dst_unused:UNUSED_PAD src0_sel:WORD_1 src1_sel:DWORD
	v_ffbh_u32_e32 v16, v14
	v_mov_b32_e32 v15, 3
	v_min_u32_e32 v16, 32, v16
	v_lshrrev_b16_sdwa v15, v15, v0 dst_sel:DWORD dst_unused:UNUSED_PAD src0_sel:DWORD src1_sel:WORD_1
	v_subrev_u32_e32 v17, 28, v16
	v_and_b32_e32 v15, 15, v15
	v_lshlrev_b32_e32 v17, v17, v14
	v_sub_u32_e32 v16, 29, v16
	v_and_b32_e32 v17, 7, v17
	v_cmp_eq_u16_e32 vcc, 0, v15
	v_lshrrev_b16_sdwa v13, v13, v0 dst_sel:DWORD dst_unused:UNUSED_PAD src0_sel:DWORD src1_sel:WORD_1
	v_cndmask_b32_e32 v14, v14, v17, vcc
	v_cndmask_b32_e32 v15, v15, v16, vcc
	v_mov_b32_e32 v16, 0x3b800000
	v_lshlrev_b32_e32 v14, 20, v14
	v_lshlrev_b32_e32 v13, 31, v13
	v_lshl_add_u32 v15, v15, 23, v16
	v_or3_b32 v13, v13, v15, v14
.LBB4_2310:
	s_or_b64 exec, exec, s[6:7]
	v_mov_b32_e32 v14, 8
	v_lshrrev_b16_sdwa v15, v14, v0 dst_sel:DWORD dst_unused:UNUSED_PAD src0_sel:DWORD src1_sel:WORD_1
	s_movk_i32 s4, 0x7f
	v_cmp_lt_i16_e32 vcc, s4, v15
	s_mov_b64 s[4:5], 0
                                        ; implicit-def: $sgpr10
	s_and_saveexec_b64 s[6:7], vcc
	s_xor_b64 s[6:7], exec, s[6:7]
	s_cbranch_execnz .LBB4_2567
; %bb.2311:
	s_or_saveexec_b64 s[6:7], s[6:7]
	v_mov_b32_e32 v14, s10
	s_xor_b64 exec, exec, s[6:7]
	s_cbranch_execnz .LBB4_2570
.LBB4_2312:
	s_or_b64 exec, exec, s[6:7]
	s_and_saveexec_b64 s[6:7], s[4:5]
	s_cbranch_execz .LBB4_2314
.LBB4_2313:
	v_mov_b32_e32 v14, 8
	v_lshrrev_b16_sdwa v14, v14, v0 dst_sel:DWORD dst_unused:UNUSED_PAD src0_sel:DWORD src1_sel:WORD_1
	v_and_b32_e32 v14, 7, v14
	v_mov_b32_e32 v15, 15
	v_mov_b32_e32 v16, 11
	v_lshrrev_b16_sdwa v15, v15, v0 dst_sel:DWORD dst_unused:UNUSED_PAD src0_sel:DWORD src1_sel:WORD_1
	v_lshrrev_b16_sdwa v0, v16, v0 dst_sel:DWORD dst_unused:UNUSED_PAD src0_sel:DWORD src1_sel:WORD_1
	v_ffbh_u32_e32 v16, v14
	v_min_u32_e32 v16, 32, v16
	v_subrev_u32_e32 v17, 28, v16
	v_and_b32_e32 v0, 15, v0
	v_lshlrev_b32_e32 v17, v17, v14
	v_sub_u32_e32 v16, 29, v16
	v_and_b32_e32 v17, 7, v17
	v_cmp_eq_u16_e32 vcc, 0, v0
	v_cndmask_b32_e32 v14, v14, v17, vcc
	v_cndmask_b32_e32 v0, v0, v16, vcc
	v_mov_b32_e32 v16, 0x3b800000
	v_lshlrev_b32_e32 v14, 20, v14
	v_lshlrev_b32_e32 v15, 31, v15
	v_lshl_add_u32 v0, v0, 23, v16
	v_or3_b32 v14, v15, v0, v14
.LBB4_2314:
	s_or_b64 exec, exec, s[6:7]
	s_movk_i32 s4, 0x7f
	v_cmp_gt_i16_sdwa s[6:7], v1, s4 src0_sel:BYTE_0 src1_sel:DWORD
	s_mov_b64 s[4:5], 0
                                        ; implicit-def: $sgpr10
	s_and_saveexec_b64 s[8:9], s[6:7]
	s_xor_b64 s[6:7], exec, s[8:9]
	s_cbranch_execnz .LBB4_2571
; %bb.2315:
	s_or_saveexec_b64 s[6:7], s[6:7]
	v_mov_b32_e32 v0, s10
	s_xor_b64 exec, exec, s[6:7]
	s_cbranch_execnz .LBB4_2574
.LBB4_2316:
	s_or_b64 exec, exec, s[6:7]
	s_and_saveexec_b64 s[6:7], s[4:5]
	s_cbranch_execz .LBB4_2318
.LBB4_2317:
	v_and_b32_e32 v0, 7, v1
	v_ffbh_u32_e32 v17, v0
	v_min_u32_e32 v17, 32, v17
	v_lshrrev_b16_e32 v16, 3, v1
	v_subrev_u32_e32 v18, 28, v17
	v_and_b32_e32 v16, 15, v16
	v_lshlrev_b32_e32 v18, v18, v0
	v_sub_u32_e32 v17, 29, v17
	v_and_b32_e32 v18, 7, v18
	v_cmp_eq_u16_e32 vcc, 0, v16
	v_lshrrev_b16_e32 v15, 7, v1
	v_cndmask_b32_e32 v0, v0, v18, vcc
	v_cndmask_b32_e32 v16, v16, v17, vcc
	v_mov_b32_e32 v17, 0x3b800000
	v_lshlrev_b32_e32 v0, 20, v0
	v_lshlrev_b32_e32 v15, 31, v15
	v_lshl_add_u32 v16, v16, 23, v17
	v_or3_b32 v0, v15, v16, v0
.LBB4_2318:
	s_or_b64 exec, exec, s[6:7]
	s_movk_i32 s4, 0x7f
	v_cmp_gt_i16_sdwa s[6:7], v1, s4 src0_sel:BYTE_1 src1_sel:DWORD
	s_mov_b64 s[4:5], 0
                                        ; implicit-def: $sgpr10
	s_and_saveexec_b64 s[8:9], s[6:7]
	s_xor_b64 s[6:7], exec, s[8:9]
	s_cbranch_execnz .LBB4_2575
; %bb.2319:
	s_or_saveexec_b64 s[6:7], s[6:7]
	v_mov_b32_e32 v15, s10
	s_xor_b64 exec, exec, s[6:7]
	s_cbranch_execnz .LBB4_2578
.LBB4_2320:
	s_or_b64 exec, exec, s[6:7]
	s_and_saveexec_b64 s[6:7], s[4:5]
	s_cbranch_execz .LBB4_2322
.LBB4_2321:
	v_mov_b32_e32 v15, 7
	v_and_b32_sdwa v15, v1, v15 dst_sel:DWORD dst_unused:UNUSED_PAD src0_sel:BYTE_1 src1_sel:DWORD
	v_ffbh_u32_e32 v18, v15
	v_min_u32_e32 v18, 32, v18
	v_lshrrev_b16_e32 v17, 11, v1
	v_subrev_u32_e32 v19, 28, v18
	v_and_b32_e32 v17, 15, v17
	v_lshlrev_b32_e32 v19, v19, v15
	v_sub_u32_e32 v18, 29, v18
	v_and_b32_e32 v19, 7, v19
	v_cmp_eq_u16_e32 vcc, 0, v17
	v_lshrrev_b16_e32 v16, 15, v1
	v_cndmask_b32_e32 v15, v15, v19, vcc
	v_cndmask_b32_e32 v17, v17, v18, vcc
	v_mov_b32_e32 v18, 0x3b800000
	v_lshlrev_b32_e32 v15, 20, v15
	v_lshlrev_b32_e32 v16, 31, v16
	v_lshl_add_u32 v17, v17, 23, v18
	v_or3_b32 v15, v16, v17, v15
.LBB4_2322:
	s_or_b64 exec, exec, s[6:7]
	s_movk_i32 s4, 0xff
	v_and_b32_sdwa v17, v1, s4 dst_sel:DWORD dst_unused:UNUSED_PAD src0_sel:WORD_1 src1_sel:DWORD
	s_movk_i32 s4, 0x7f
	v_cmp_lt_i16_e32 vcc, s4, v17
	s_mov_b64 s[4:5], 0
                                        ; implicit-def: $sgpr10
	s_and_saveexec_b64 s[6:7], vcc
	s_xor_b64 s[6:7], exec, s[6:7]
	s_cbranch_execnz .LBB4_2579
; %bb.2323:
	s_or_saveexec_b64 s[6:7], s[6:7]
	v_mov_b32_e32 v16, s10
	s_xor_b64 exec, exec, s[6:7]
	s_cbranch_execnz .LBB4_2582
.LBB4_2324:
	s_or_b64 exec, exec, s[6:7]
	s_and_saveexec_b64 s[6:7], s[4:5]
	s_cbranch_execz .LBB4_2326
.LBB4_2325:
	v_mov_b32_e32 v16, 7
	v_and_b32_sdwa v17, v1, v16 dst_sel:DWORD dst_unused:UNUSED_PAD src0_sel:WORD_1 src1_sel:DWORD
	v_ffbh_u32_e32 v19, v17
	v_mov_b32_e32 v18, 3
	v_min_u32_e32 v19, 32, v19
	v_lshrrev_b16_sdwa v18, v18, v1 dst_sel:DWORD dst_unused:UNUSED_PAD src0_sel:DWORD src1_sel:WORD_1
	v_subrev_u32_e32 v20, 28, v19
	v_and_b32_e32 v18, 15, v18
	v_lshlrev_b32_e32 v20, v20, v17
	v_sub_u32_e32 v19, 29, v19
	v_and_b32_e32 v20, 7, v20
	v_cmp_eq_u16_e32 vcc, 0, v18
	v_lshrrev_b16_sdwa v16, v16, v1 dst_sel:DWORD dst_unused:UNUSED_PAD src0_sel:DWORD src1_sel:WORD_1
	v_cndmask_b32_e32 v17, v17, v20, vcc
	v_cndmask_b32_e32 v18, v18, v19, vcc
	v_mov_b32_e32 v19, 0x3b800000
	v_lshlrev_b32_e32 v17, 20, v17
	v_lshlrev_b32_e32 v16, 31, v16
	v_lshl_add_u32 v18, v18, 23, v19
	v_or3_b32 v16, v16, v18, v17
.LBB4_2326:
	s_or_b64 exec, exec, s[6:7]
	v_mov_b32_e32 v17, 8
	v_lshrrev_b16_sdwa v18, v17, v1 dst_sel:DWORD dst_unused:UNUSED_PAD src0_sel:DWORD src1_sel:WORD_1
	s_movk_i32 s4, 0x7f
	v_cmp_lt_i16_e32 vcc, s4, v18
	s_mov_b64 s[4:5], 0
                                        ; implicit-def: $sgpr10
	s_and_saveexec_b64 s[6:7], vcc
	s_xor_b64 s[6:7], exec, s[6:7]
	s_cbranch_execnz .LBB4_2583
; %bb.2327:
	s_or_saveexec_b64 s[6:7], s[6:7]
	v_mov_b32_e32 v17, s10
	s_xor_b64 exec, exec, s[6:7]
	s_cbranch_execnz .LBB4_2586
.LBB4_2328:
	s_or_b64 exec, exec, s[6:7]
	s_and_saveexec_b64 s[6:7], s[4:5]
	s_cbranch_execz .LBB4_2330
.LBB4_2329:
	v_mov_b32_e32 v17, 8
	v_lshrrev_b16_sdwa v17, v17, v1 dst_sel:DWORD dst_unused:UNUSED_PAD src0_sel:DWORD src1_sel:WORD_1
	v_and_b32_e32 v17, 7, v17
	v_mov_b32_e32 v18, 15
	v_mov_b32_e32 v19, 11
	v_lshrrev_b16_sdwa v18, v18, v1 dst_sel:DWORD dst_unused:UNUSED_PAD src0_sel:DWORD src1_sel:WORD_1
	v_lshrrev_b16_sdwa v1, v19, v1 dst_sel:DWORD dst_unused:UNUSED_PAD src0_sel:DWORD src1_sel:WORD_1
	v_ffbh_u32_e32 v19, v17
	v_min_u32_e32 v19, 32, v19
	v_subrev_u32_e32 v20, 28, v19
	v_and_b32_e32 v1, 15, v1
	v_lshlrev_b32_e32 v20, v20, v17
	v_sub_u32_e32 v19, 29, v19
	v_and_b32_e32 v20, 7, v20
	v_cmp_eq_u16_e32 vcc, 0, v1
	v_cndmask_b32_e32 v17, v17, v20, vcc
	v_cndmask_b32_e32 v1, v1, v19, vcc
	v_mov_b32_e32 v19, 0x3b800000
	v_lshlrev_b32_e32 v17, 20, v17
	v_lshlrev_b32_e32 v18, 31, v18
	v_lshl_add_u32 v1, v1, 23, v19
	v_or3_b32 v17, v18, v1, v17
.LBB4_2330:
	s_or_b64 exec, exec, s[6:7]
	s_movk_i32 s4, 0x7f
	v_cmp_gt_i16_sdwa s[6:7], v2, s4 src0_sel:BYTE_0 src1_sel:DWORD
	s_mov_b64 s[4:5], 0
                                        ; implicit-def: $sgpr10
	s_and_saveexec_b64 s[8:9], s[6:7]
	s_xor_b64 s[6:7], exec, s[8:9]
	s_cbranch_execnz .LBB4_2587
; %bb.2331:
	s_or_saveexec_b64 s[6:7], s[6:7]
	v_mov_b32_e32 v1, s10
	s_xor_b64 exec, exec, s[6:7]
	s_cbranch_execnz .LBB4_2590
.LBB4_2332:
	s_or_b64 exec, exec, s[6:7]
	s_and_saveexec_b64 s[6:7], s[4:5]
	s_cbranch_execz .LBB4_2334
.LBB4_2333:
	v_and_b32_e32 v1, 7, v2
	v_ffbh_u32_e32 v20, v1
	v_min_u32_e32 v20, 32, v20
	v_lshrrev_b16_e32 v19, 3, v2
	v_subrev_u32_e32 v21, 28, v20
	v_and_b32_e32 v19, 15, v19
	v_lshlrev_b32_e32 v21, v21, v1
	v_sub_u32_e32 v20, 29, v20
	v_and_b32_e32 v21, 7, v21
	v_cmp_eq_u16_e32 vcc, 0, v19
	v_lshrrev_b16_e32 v18, 7, v2
	v_cndmask_b32_e32 v1, v1, v21, vcc
	v_cndmask_b32_e32 v19, v19, v20, vcc
	v_mov_b32_e32 v20, 0x3b800000
	v_lshlrev_b32_e32 v1, 20, v1
	v_lshlrev_b32_e32 v18, 31, v18
	v_lshl_add_u32 v19, v19, 23, v20
	v_or3_b32 v1, v18, v19, v1
.LBB4_2334:
	s_or_b64 exec, exec, s[6:7]
	s_movk_i32 s4, 0x7f
	v_cmp_gt_i16_sdwa s[6:7], v2, s4 src0_sel:BYTE_1 src1_sel:DWORD
	s_mov_b64 s[4:5], 0
                                        ; implicit-def: $sgpr10
	s_and_saveexec_b64 s[8:9], s[6:7]
	s_xor_b64 s[6:7], exec, s[8:9]
	s_cbranch_execnz .LBB4_2591
; %bb.2335:
	s_or_saveexec_b64 s[6:7], s[6:7]
	v_mov_b32_e32 v18, s10
	s_xor_b64 exec, exec, s[6:7]
	s_cbranch_execnz .LBB4_2594
.LBB4_2336:
	s_or_b64 exec, exec, s[6:7]
	s_and_saveexec_b64 s[6:7], s[4:5]
	s_cbranch_execz .LBB4_2338
.LBB4_2337:
	v_mov_b32_e32 v18, 7
	v_and_b32_sdwa v18, v2, v18 dst_sel:DWORD dst_unused:UNUSED_PAD src0_sel:BYTE_1 src1_sel:DWORD
	v_ffbh_u32_e32 v21, v18
	v_min_u32_e32 v21, 32, v21
	v_lshrrev_b16_e32 v20, 11, v2
	v_subrev_u32_e32 v22, 28, v21
	v_and_b32_e32 v20, 15, v20
	v_lshlrev_b32_e32 v22, v22, v18
	v_sub_u32_e32 v21, 29, v21
	v_and_b32_e32 v22, 7, v22
	v_cmp_eq_u16_e32 vcc, 0, v20
	v_lshrrev_b16_e32 v19, 15, v2
	v_cndmask_b32_e32 v18, v18, v22, vcc
	v_cndmask_b32_e32 v20, v20, v21, vcc
	v_mov_b32_e32 v21, 0x3b800000
	v_lshlrev_b32_e32 v18, 20, v18
	v_lshlrev_b32_e32 v19, 31, v19
	v_lshl_add_u32 v20, v20, 23, v21
	v_or3_b32 v18, v19, v20, v18
.LBB4_2338:
	s_or_b64 exec, exec, s[6:7]
	s_movk_i32 s4, 0xff
	v_and_b32_sdwa v20, v2, s4 dst_sel:DWORD dst_unused:UNUSED_PAD src0_sel:WORD_1 src1_sel:DWORD
	s_movk_i32 s4, 0x7f
	v_cmp_lt_i16_e32 vcc, s4, v20
	s_mov_b64 s[4:5], 0
                                        ; implicit-def: $sgpr10
	s_and_saveexec_b64 s[6:7], vcc
	s_xor_b64 s[6:7], exec, s[6:7]
	s_cbranch_execnz .LBB4_2595
; %bb.2339:
	s_or_saveexec_b64 s[6:7], s[6:7]
	v_mov_b32_e32 v19, s10
	s_xor_b64 exec, exec, s[6:7]
	s_cbranch_execnz .LBB4_2598
.LBB4_2340:
	s_or_b64 exec, exec, s[6:7]
	s_and_saveexec_b64 s[6:7], s[4:5]
	s_cbranch_execz .LBB4_2342
.LBB4_2341:
	v_mov_b32_e32 v19, 7
	v_and_b32_sdwa v20, v2, v19 dst_sel:DWORD dst_unused:UNUSED_PAD src0_sel:WORD_1 src1_sel:DWORD
	v_ffbh_u32_e32 v22, v20
	v_mov_b32_e32 v21, 3
	v_min_u32_e32 v22, 32, v22
	v_lshrrev_b16_sdwa v21, v21, v2 dst_sel:DWORD dst_unused:UNUSED_PAD src0_sel:DWORD src1_sel:WORD_1
	v_subrev_u32_e32 v23, 28, v22
	v_and_b32_e32 v21, 15, v21
	v_lshlrev_b32_e32 v23, v23, v20
	v_sub_u32_e32 v22, 29, v22
	v_and_b32_e32 v23, 7, v23
	v_cmp_eq_u16_e32 vcc, 0, v21
	v_lshrrev_b16_sdwa v19, v19, v2 dst_sel:DWORD dst_unused:UNUSED_PAD src0_sel:DWORD src1_sel:WORD_1
	v_cndmask_b32_e32 v20, v20, v23, vcc
	v_cndmask_b32_e32 v21, v21, v22, vcc
	v_mov_b32_e32 v22, 0x3b800000
	v_lshlrev_b32_e32 v20, 20, v20
	v_lshlrev_b32_e32 v19, 31, v19
	v_lshl_add_u32 v21, v21, 23, v22
	v_or3_b32 v19, v19, v21, v20
.LBB4_2342:
	s_or_b64 exec, exec, s[6:7]
	v_mov_b32_e32 v20, 8
	v_lshrrev_b16_sdwa v21, v20, v2 dst_sel:DWORD dst_unused:UNUSED_PAD src0_sel:DWORD src1_sel:WORD_1
	s_movk_i32 s4, 0x7f
	v_cmp_lt_i16_e32 vcc, s4, v21
	s_mov_b64 s[4:5], 0
                                        ; implicit-def: $sgpr10
	s_and_saveexec_b64 s[6:7], vcc
	s_xor_b64 s[6:7], exec, s[6:7]
	s_cbranch_execnz .LBB4_2599
; %bb.2343:
	s_or_saveexec_b64 s[6:7], s[6:7]
	v_mov_b32_e32 v20, s10
	s_xor_b64 exec, exec, s[6:7]
	s_cbranch_execnz .LBB4_2602
.LBB4_2344:
	s_or_b64 exec, exec, s[6:7]
	s_and_saveexec_b64 s[6:7], s[4:5]
	s_cbranch_execz .LBB4_2346
.LBB4_2345:
	v_mov_b32_e32 v20, 8
	v_lshrrev_b16_sdwa v20, v20, v2 dst_sel:DWORD dst_unused:UNUSED_PAD src0_sel:DWORD src1_sel:WORD_1
	v_and_b32_e32 v20, 7, v20
	v_mov_b32_e32 v21, 15
	v_mov_b32_e32 v22, 11
	v_lshrrev_b16_sdwa v21, v21, v2 dst_sel:DWORD dst_unused:UNUSED_PAD src0_sel:DWORD src1_sel:WORD_1
	v_lshrrev_b16_sdwa v2, v22, v2 dst_sel:DWORD dst_unused:UNUSED_PAD src0_sel:DWORD src1_sel:WORD_1
	v_ffbh_u32_e32 v22, v20
	v_min_u32_e32 v22, 32, v22
	v_subrev_u32_e32 v23, 28, v22
	v_and_b32_e32 v2, 15, v2
	v_lshlrev_b32_e32 v23, v23, v20
	v_sub_u32_e32 v22, 29, v22
	v_and_b32_e32 v23, 7, v23
	v_cmp_eq_u16_e32 vcc, 0, v2
	v_cndmask_b32_e32 v20, v20, v23, vcc
	v_cndmask_b32_e32 v2, v2, v22, vcc
	v_mov_b32_e32 v22, 0x3b800000
	v_lshlrev_b32_e32 v20, 20, v20
	v_lshlrev_b32_e32 v21, 31, v21
	v_lshl_add_u32 v2, v2, 23, v22
	v_or3_b32 v20, v21, v2, v20
.LBB4_2346:
	s_or_b64 exec, exec, s[6:7]
	s_movk_i32 s4, 0x7f
	v_cmp_gt_i16_sdwa s[6:7], v3, s4 src0_sel:BYTE_0 src1_sel:DWORD
	s_mov_b64 s[4:5], 0
                                        ; implicit-def: $sgpr10
	s_and_saveexec_b64 s[8:9], s[6:7]
	s_xor_b64 s[6:7], exec, s[8:9]
	s_cbranch_execnz .LBB4_2603
; %bb.2347:
	s_or_saveexec_b64 s[6:7], s[6:7]
	v_mov_b32_e32 v2, s10
	s_xor_b64 exec, exec, s[6:7]
	s_cbranch_execnz .LBB4_2606
.LBB4_2348:
	s_or_b64 exec, exec, s[6:7]
	s_and_saveexec_b64 s[6:7], s[4:5]
	s_cbranch_execz .LBB4_2350
.LBB4_2349:
	v_and_b32_e32 v2, 7, v3
	v_ffbh_u32_e32 v23, v2
	v_min_u32_e32 v23, 32, v23
	v_lshrrev_b16_e32 v22, 3, v3
	v_subrev_u32_e32 v24, 28, v23
	v_and_b32_e32 v22, 15, v22
	v_lshlrev_b32_e32 v24, v24, v2
	v_sub_u32_e32 v23, 29, v23
	v_and_b32_e32 v24, 7, v24
	v_cmp_eq_u16_e32 vcc, 0, v22
	v_lshrrev_b16_e32 v21, 7, v3
	v_cndmask_b32_e32 v2, v2, v24, vcc
	v_cndmask_b32_e32 v22, v22, v23, vcc
	v_mov_b32_e32 v23, 0x3b800000
	v_lshlrev_b32_e32 v2, 20, v2
	v_lshlrev_b32_e32 v21, 31, v21
	v_lshl_add_u32 v22, v22, 23, v23
	v_or3_b32 v2, v21, v22, v2
.LBB4_2350:
	s_or_b64 exec, exec, s[6:7]
	s_movk_i32 s4, 0x7f
	v_cmp_gt_i16_sdwa s[6:7], v3, s4 src0_sel:BYTE_1 src1_sel:DWORD
	s_mov_b64 s[4:5], 0
                                        ; implicit-def: $sgpr10
	s_and_saveexec_b64 s[8:9], s[6:7]
	s_xor_b64 s[6:7], exec, s[8:9]
	s_cbranch_execnz .LBB4_2607
; %bb.2351:
	s_or_saveexec_b64 s[6:7], s[6:7]
	v_mov_b32_e32 v21, s10
	s_xor_b64 exec, exec, s[6:7]
	s_cbranch_execnz .LBB4_2610
.LBB4_2352:
	s_or_b64 exec, exec, s[6:7]
	s_and_saveexec_b64 s[6:7], s[4:5]
	s_cbranch_execz .LBB4_2354
.LBB4_2353:
	v_mov_b32_e32 v21, 7
	v_and_b32_sdwa v21, v3, v21 dst_sel:DWORD dst_unused:UNUSED_PAD src0_sel:BYTE_1 src1_sel:DWORD
	v_ffbh_u32_e32 v24, v21
	v_min_u32_e32 v24, 32, v24
	v_lshrrev_b16_e32 v23, 11, v3
	v_subrev_u32_e32 v25, 28, v24
	v_and_b32_e32 v23, 15, v23
	v_lshlrev_b32_e32 v25, v25, v21
	v_sub_u32_e32 v24, 29, v24
	v_and_b32_e32 v25, 7, v25
	v_cmp_eq_u16_e32 vcc, 0, v23
	v_lshrrev_b16_e32 v22, 15, v3
	v_cndmask_b32_e32 v21, v21, v25, vcc
	v_cndmask_b32_e32 v23, v23, v24, vcc
	v_mov_b32_e32 v24, 0x3b800000
	v_lshlrev_b32_e32 v21, 20, v21
	v_lshlrev_b32_e32 v22, 31, v22
	v_lshl_add_u32 v23, v23, 23, v24
	v_or3_b32 v21, v22, v23, v21
.LBB4_2354:
	s_or_b64 exec, exec, s[6:7]
	s_movk_i32 s4, 0xff
	v_and_b32_sdwa v23, v3, s4 dst_sel:DWORD dst_unused:UNUSED_PAD src0_sel:WORD_1 src1_sel:DWORD
	s_movk_i32 s4, 0x7f
	v_cmp_lt_i16_e32 vcc, s4, v23
	s_mov_b64 s[4:5], 0
                                        ; implicit-def: $sgpr10
	s_and_saveexec_b64 s[6:7], vcc
	s_xor_b64 s[6:7], exec, s[6:7]
	s_cbranch_execnz .LBB4_2611
; %bb.2355:
	s_or_saveexec_b64 s[6:7], s[6:7]
	v_mov_b32_e32 v22, s10
	s_xor_b64 exec, exec, s[6:7]
	s_cbranch_execnz .LBB4_2614
.LBB4_2356:
	s_or_b64 exec, exec, s[6:7]
	s_and_saveexec_b64 s[6:7], s[4:5]
	s_cbranch_execz .LBB4_2358
.LBB4_2357:
	v_mov_b32_e32 v22, 7
	v_and_b32_sdwa v23, v3, v22 dst_sel:DWORD dst_unused:UNUSED_PAD src0_sel:WORD_1 src1_sel:DWORD
	v_ffbh_u32_e32 v25, v23
	v_mov_b32_e32 v24, 3
	v_min_u32_e32 v25, 32, v25
	v_lshrrev_b16_sdwa v24, v24, v3 dst_sel:DWORD dst_unused:UNUSED_PAD src0_sel:DWORD src1_sel:WORD_1
	v_subrev_u32_e32 v26, 28, v25
	v_and_b32_e32 v24, 15, v24
	v_lshlrev_b32_e32 v26, v26, v23
	v_sub_u32_e32 v25, 29, v25
	v_and_b32_e32 v26, 7, v26
	v_cmp_eq_u16_e32 vcc, 0, v24
	v_lshrrev_b16_sdwa v22, v22, v3 dst_sel:DWORD dst_unused:UNUSED_PAD src0_sel:DWORD src1_sel:WORD_1
	v_cndmask_b32_e32 v23, v23, v26, vcc
	v_cndmask_b32_e32 v24, v24, v25, vcc
	v_mov_b32_e32 v25, 0x3b800000
	v_lshlrev_b32_e32 v23, 20, v23
	v_lshlrev_b32_e32 v22, 31, v22
	v_lshl_add_u32 v24, v24, 23, v25
	v_or3_b32 v22, v22, v24, v23
.LBB4_2358:
	s_or_b64 exec, exec, s[6:7]
	v_mov_b32_e32 v23, 8
	v_lshrrev_b16_sdwa v24, v23, v3 dst_sel:DWORD dst_unused:UNUSED_PAD src0_sel:DWORD src1_sel:WORD_1
	s_movk_i32 s4, 0x7f
	v_cmp_lt_i16_e32 vcc, s4, v24
	s_mov_b64 s[4:5], 0
                                        ; implicit-def: $sgpr10
	s_and_saveexec_b64 s[6:7], vcc
	s_xor_b64 s[6:7], exec, s[6:7]
	s_cbranch_execnz .LBB4_2615
; %bb.2359:
	s_or_saveexec_b64 s[6:7], s[6:7]
	v_mov_b32_e32 v23, s10
	s_xor_b64 exec, exec, s[6:7]
	s_cbranch_execnz .LBB4_2618
.LBB4_2360:
	s_or_b64 exec, exec, s[6:7]
	s_and_saveexec_b64 s[6:7], s[4:5]
	s_cbranch_execz .LBB4_2362
.LBB4_2361:
	v_mov_b32_e32 v23, 8
	v_lshrrev_b16_sdwa v23, v23, v3 dst_sel:DWORD dst_unused:UNUSED_PAD src0_sel:DWORD src1_sel:WORD_1
	v_and_b32_e32 v23, 7, v23
	v_mov_b32_e32 v24, 15
	v_mov_b32_e32 v25, 11
	v_lshrrev_b16_sdwa v24, v24, v3 dst_sel:DWORD dst_unused:UNUSED_PAD src0_sel:DWORD src1_sel:WORD_1
	v_lshrrev_b16_sdwa v3, v25, v3 dst_sel:DWORD dst_unused:UNUSED_PAD src0_sel:DWORD src1_sel:WORD_1
	v_ffbh_u32_e32 v25, v23
	v_min_u32_e32 v25, 32, v25
	v_subrev_u32_e32 v26, 28, v25
	v_and_b32_e32 v3, 15, v3
	v_lshlrev_b32_e32 v26, v26, v23
	v_sub_u32_e32 v25, 29, v25
	v_and_b32_e32 v26, 7, v26
	v_cmp_eq_u16_e32 vcc, 0, v3
	v_cndmask_b32_e32 v23, v23, v26, vcc
	v_cndmask_b32_e32 v3, v3, v25, vcc
	v_mov_b32_e32 v25, 0x3b800000
	v_lshlrev_b32_e32 v23, 20, v23
	v_lshlrev_b32_e32 v24, 31, v24
	v_lshl_add_u32 v3, v3, 23, v25
	v_or3_b32 v23, v24, v3, v23
.LBB4_2362:
	s_or_b64 exec, exec, s[6:7]
	v_cvt_pkrtz_f16_f32 v3, v11, v12
	v_cvt_pkrtz_f16_f32 v11, v13, v14
	;; [unrolled: 1-line block ×8, first 2 shown]
	buffer_store_dword v11, off, s[0:3], s33 offset:196
	buffer_store_dword v3, off, s[0:3], s33 offset:192
	;; [unrolled: 1-line block ×8, first 2 shown]
	v_add_u32_e32 v0, 48, v7
	v_ashrrev_i32_e32 v1, 31, v0
	v_lshrrev_b32_e32 v1, 28, v1
	v_add_u32_e32 v1, v0, v1
	v_lshrrev_b32_e32 v2, 4, v1
	v_and_b32_e32 v1, -16, v1
	v_sub_u32_e32 v0, v0, v1
	v_add_u32_e32 v1, v6, v2
	v_xor_b32_e32 v1, v1, v10
	v_sub_u32_e32 v1, v1, v5
	v_lshlrev_b32_e32 v1, 4, v1
	v_add3_u32 v0, v4, v0, v1
	v_ashrrev_i32_e32 v1, 31, v0
	v_add_co_u32_e32 v0, vcc, v8, v0
	v_addc_co_u32_e32 v1, vcc, v9, v1, vcc
	flat_load_dwordx4 v[0:3], v[0:1]
	s_movk_i32 s4, 0x7f
                                        ; implicit-def: $sgpr10
	s_waitcnt vmcnt(0) lgkmcnt(0)
	v_cmp_gt_i16_sdwa s[6:7], v0, s4 src0_sel:BYTE_0 src1_sel:DWORD
	s_mov_b64 s[4:5], 0
	s_and_saveexec_b64 s[8:9], s[6:7]
	s_xor_b64 s[6:7], exec, s[8:9]
	s_cbranch_execnz .LBB4_2619
; %bb.2363:
	s_or_saveexec_b64 s[6:7], s[6:7]
	v_mov_b32_e32 v4, s10
	s_xor_b64 exec, exec, s[6:7]
	s_cbranch_execnz .LBB4_2622
.LBB4_2364:
	s_or_b64 exec, exec, s[6:7]
	s_and_saveexec_b64 s[6:7], s[4:5]
	s_cbranch_execz .LBB4_2366
.LBB4_2365:
	v_and_b32_e32 v4, 7, v0
	v_ffbh_u32_e32 v7, v4
	v_min_u32_e32 v7, 32, v7
	v_lshrrev_b16_e32 v6, 3, v0
	v_subrev_u32_e32 v8, 28, v7
	v_and_b32_e32 v6, 15, v6
	v_lshlrev_b32_e32 v8, v8, v4
	v_sub_u32_e32 v7, 29, v7
	v_and_b32_e32 v8, 7, v8
	v_cmp_eq_u16_e32 vcc, 0, v6
	v_lshrrev_b16_e32 v5, 7, v0
	v_cndmask_b32_e32 v4, v4, v8, vcc
	v_cndmask_b32_e32 v6, v6, v7, vcc
	v_mov_b32_e32 v7, 0x3b800000
	v_lshlrev_b32_e32 v4, 20, v4
	v_lshlrev_b32_e32 v5, 31, v5
	v_lshl_add_u32 v6, v6, 23, v7
	v_or3_b32 v4, v5, v6, v4
.LBB4_2366:
	s_or_b64 exec, exec, s[6:7]
	s_movk_i32 s4, 0x7f
	v_cmp_gt_i16_sdwa s[6:7], v0, s4 src0_sel:BYTE_1 src1_sel:DWORD
	s_mov_b64 s[4:5], 0
                                        ; implicit-def: $sgpr10
	s_and_saveexec_b64 s[8:9], s[6:7]
	s_xor_b64 s[6:7], exec, s[8:9]
	s_cbranch_execnz .LBB4_2623
; %bb.2367:
	s_or_saveexec_b64 s[6:7], s[6:7]
	v_mov_b32_e32 v5, s10
	s_xor_b64 exec, exec, s[6:7]
	s_cbranch_execnz .LBB4_2626
.LBB4_2368:
	s_or_b64 exec, exec, s[6:7]
	s_and_saveexec_b64 s[6:7], s[4:5]
	s_cbranch_execz .LBB4_2370
.LBB4_2369:
	v_mov_b32_e32 v5, 7
	v_and_b32_sdwa v5, v0, v5 dst_sel:DWORD dst_unused:UNUSED_PAD src0_sel:BYTE_1 src1_sel:DWORD
	v_ffbh_u32_e32 v8, v5
	v_min_u32_e32 v8, 32, v8
	v_lshrrev_b16_e32 v7, 11, v0
	v_subrev_u32_e32 v9, 28, v8
	v_and_b32_e32 v7, 15, v7
	v_lshlrev_b32_e32 v9, v9, v5
	v_sub_u32_e32 v8, 29, v8
	v_and_b32_e32 v9, 7, v9
	v_cmp_eq_u16_e32 vcc, 0, v7
	v_lshrrev_b16_e32 v6, 15, v0
	v_cndmask_b32_e32 v5, v5, v9, vcc
	v_cndmask_b32_e32 v7, v7, v8, vcc
	v_mov_b32_e32 v8, 0x3b800000
	v_lshlrev_b32_e32 v5, 20, v5
	v_lshlrev_b32_e32 v6, 31, v6
	v_lshl_add_u32 v7, v7, 23, v8
	v_or3_b32 v5, v6, v7, v5
.LBB4_2370:
	s_or_b64 exec, exec, s[6:7]
	s_movk_i32 s4, 0xff
	v_and_b32_sdwa v7, v0, s4 dst_sel:DWORD dst_unused:UNUSED_PAD src0_sel:WORD_1 src1_sel:DWORD
	s_movk_i32 s4, 0x7f
	v_cmp_lt_i16_e32 vcc, s4, v7
	s_mov_b64 s[4:5], 0
                                        ; implicit-def: $sgpr10
	s_and_saveexec_b64 s[6:7], vcc
	s_xor_b64 s[6:7], exec, s[6:7]
	s_cbranch_execnz .LBB4_2627
; %bb.2371:
	s_or_saveexec_b64 s[6:7], s[6:7]
	v_mov_b32_e32 v6, s10
	s_xor_b64 exec, exec, s[6:7]
	s_cbranch_execnz .LBB4_2630
.LBB4_2372:
	s_or_b64 exec, exec, s[6:7]
	s_and_saveexec_b64 s[6:7], s[4:5]
	s_cbranch_execz .LBB4_2374
.LBB4_2373:
	v_mov_b32_e32 v6, 7
	v_and_b32_sdwa v7, v0, v6 dst_sel:DWORD dst_unused:UNUSED_PAD src0_sel:WORD_1 src1_sel:DWORD
	v_ffbh_u32_e32 v9, v7
	v_mov_b32_e32 v8, 3
	v_min_u32_e32 v9, 32, v9
	v_lshrrev_b16_sdwa v8, v8, v0 dst_sel:DWORD dst_unused:UNUSED_PAD src0_sel:DWORD src1_sel:WORD_1
	v_subrev_u32_e32 v10, 28, v9
	v_and_b32_e32 v8, 15, v8
	v_lshlrev_b32_e32 v10, v10, v7
	v_sub_u32_e32 v9, 29, v9
	v_and_b32_e32 v10, 7, v10
	v_cmp_eq_u16_e32 vcc, 0, v8
	v_lshrrev_b16_sdwa v6, v6, v0 dst_sel:DWORD dst_unused:UNUSED_PAD src0_sel:DWORD src1_sel:WORD_1
	v_cndmask_b32_e32 v7, v7, v10, vcc
	v_cndmask_b32_e32 v8, v8, v9, vcc
	v_mov_b32_e32 v9, 0x3b800000
	v_lshlrev_b32_e32 v7, 20, v7
	v_lshlrev_b32_e32 v6, 31, v6
	v_lshl_add_u32 v8, v8, 23, v9
	v_or3_b32 v6, v6, v8, v7
.LBB4_2374:
	s_or_b64 exec, exec, s[6:7]
	v_mov_b32_e32 v7, 8
	v_lshrrev_b16_sdwa v8, v7, v0 dst_sel:DWORD dst_unused:UNUSED_PAD src0_sel:DWORD src1_sel:WORD_1
	s_movk_i32 s4, 0x7f
	v_cmp_lt_i16_e32 vcc, s4, v8
	s_mov_b64 s[4:5], 0
                                        ; implicit-def: $sgpr10
	s_and_saveexec_b64 s[6:7], vcc
	s_xor_b64 s[6:7], exec, s[6:7]
	s_cbranch_execnz .LBB4_2631
; %bb.2375:
	s_or_saveexec_b64 s[6:7], s[6:7]
	v_mov_b32_e32 v7, s10
	s_xor_b64 exec, exec, s[6:7]
	s_cbranch_execnz .LBB4_2634
.LBB4_2376:
	s_or_b64 exec, exec, s[6:7]
	s_and_saveexec_b64 s[6:7], s[4:5]
	s_cbranch_execz .LBB4_2378
.LBB4_2377:
	v_mov_b32_e32 v7, 8
	v_lshrrev_b16_sdwa v7, v7, v0 dst_sel:DWORD dst_unused:UNUSED_PAD src0_sel:DWORD src1_sel:WORD_1
	v_and_b32_e32 v7, 7, v7
	v_mov_b32_e32 v8, 15
	v_mov_b32_e32 v9, 11
	v_lshrrev_b16_sdwa v8, v8, v0 dst_sel:DWORD dst_unused:UNUSED_PAD src0_sel:DWORD src1_sel:WORD_1
	v_lshrrev_b16_sdwa v0, v9, v0 dst_sel:DWORD dst_unused:UNUSED_PAD src0_sel:DWORD src1_sel:WORD_1
	v_ffbh_u32_e32 v9, v7
	v_min_u32_e32 v9, 32, v9
	v_subrev_u32_e32 v10, 28, v9
	v_and_b32_e32 v0, 15, v0
	v_lshlrev_b32_e32 v10, v10, v7
	v_sub_u32_e32 v9, 29, v9
	v_and_b32_e32 v10, 7, v10
	v_cmp_eq_u16_e32 vcc, 0, v0
	v_cndmask_b32_e32 v7, v7, v10, vcc
	v_cndmask_b32_e32 v0, v0, v9, vcc
	v_mov_b32_e32 v9, 0x3b800000
	v_lshlrev_b32_e32 v7, 20, v7
	v_lshlrev_b32_e32 v8, 31, v8
	v_lshl_add_u32 v0, v0, 23, v9
	v_or3_b32 v7, v8, v0, v7
.LBB4_2378:
	s_or_b64 exec, exec, s[6:7]
	s_movk_i32 s4, 0x7f
	v_cmp_gt_i16_sdwa s[6:7], v1, s4 src0_sel:BYTE_0 src1_sel:DWORD
	s_mov_b64 s[4:5], 0
                                        ; implicit-def: $sgpr10
	s_and_saveexec_b64 s[8:9], s[6:7]
	s_xor_b64 s[6:7], exec, s[8:9]
	s_cbranch_execnz .LBB4_2635
; %bb.2379:
	s_or_saveexec_b64 s[6:7], s[6:7]
	v_mov_b32_e32 v0, s10
	s_xor_b64 exec, exec, s[6:7]
	s_cbranch_execnz .LBB4_2638
.LBB4_2380:
	s_or_b64 exec, exec, s[6:7]
	s_and_saveexec_b64 s[6:7], s[4:5]
	s_cbranch_execz .LBB4_2382
.LBB4_2381:
	v_and_b32_e32 v0, 7, v1
	v_ffbh_u32_e32 v10, v0
	v_min_u32_e32 v10, 32, v10
	v_lshrrev_b16_e32 v9, 3, v1
	v_subrev_u32_e32 v11, 28, v10
	v_and_b32_e32 v9, 15, v9
	v_lshlrev_b32_e32 v11, v11, v0
	v_sub_u32_e32 v10, 29, v10
	v_and_b32_e32 v11, 7, v11
	v_cmp_eq_u16_e32 vcc, 0, v9
	v_lshrrev_b16_e32 v8, 7, v1
	v_cndmask_b32_e32 v0, v0, v11, vcc
	v_cndmask_b32_e32 v9, v9, v10, vcc
	v_mov_b32_e32 v10, 0x3b800000
	v_lshlrev_b32_e32 v0, 20, v0
	v_lshlrev_b32_e32 v8, 31, v8
	v_lshl_add_u32 v9, v9, 23, v10
	v_or3_b32 v0, v8, v9, v0
.LBB4_2382:
	s_or_b64 exec, exec, s[6:7]
	s_movk_i32 s4, 0x7f
	v_cmp_gt_i16_sdwa s[6:7], v1, s4 src0_sel:BYTE_1 src1_sel:DWORD
	s_mov_b64 s[4:5], 0
                                        ; implicit-def: $sgpr10
	s_and_saveexec_b64 s[8:9], s[6:7]
	s_xor_b64 s[6:7], exec, s[8:9]
	s_cbranch_execnz .LBB4_2639
; %bb.2383:
	s_or_saveexec_b64 s[6:7], s[6:7]
	v_mov_b32_e32 v8, s10
	s_xor_b64 exec, exec, s[6:7]
	s_cbranch_execnz .LBB4_2642
.LBB4_2384:
	s_or_b64 exec, exec, s[6:7]
	s_and_saveexec_b64 s[6:7], s[4:5]
	s_cbranch_execz .LBB4_2386
.LBB4_2385:
	v_mov_b32_e32 v8, 7
	v_and_b32_sdwa v8, v1, v8 dst_sel:DWORD dst_unused:UNUSED_PAD src0_sel:BYTE_1 src1_sel:DWORD
	v_ffbh_u32_e32 v11, v8
	v_min_u32_e32 v11, 32, v11
	v_lshrrev_b16_e32 v10, 11, v1
	v_subrev_u32_e32 v12, 28, v11
	v_and_b32_e32 v10, 15, v10
	v_lshlrev_b32_e32 v12, v12, v8
	v_sub_u32_e32 v11, 29, v11
	v_and_b32_e32 v12, 7, v12
	v_cmp_eq_u16_e32 vcc, 0, v10
	v_lshrrev_b16_e32 v9, 15, v1
	v_cndmask_b32_e32 v8, v8, v12, vcc
	v_cndmask_b32_e32 v10, v10, v11, vcc
	v_mov_b32_e32 v11, 0x3b800000
	v_lshlrev_b32_e32 v8, 20, v8
	v_lshlrev_b32_e32 v9, 31, v9
	v_lshl_add_u32 v10, v10, 23, v11
	v_or3_b32 v8, v9, v10, v8
.LBB4_2386:
	s_or_b64 exec, exec, s[6:7]
	s_movk_i32 s4, 0xff
	v_and_b32_sdwa v10, v1, s4 dst_sel:DWORD dst_unused:UNUSED_PAD src0_sel:WORD_1 src1_sel:DWORD
	s_movk_i32 s4, 0x7f
	v_cmp_lt_i16_e32 vcc, s4, v10
	s_mov_b64 s[4:5], 0
                                        ; implicit-def: $sgpr10
	s_and_saveexec_b64 s[6:7], vcc
	s_xor_b64 s[6:7], exec, s[6:7]
	s_cbranch_execnz .LBB4_2643
; %bb.2387:
	s_or_saveexec_b64 s[6:7], s[6:7]
	v_mov_b32_e32 v9, s10
	s_xor_b64 exec, exec, s[6:7]
	s_cbranch_execnz .LBB4_2646
.LBB4_2388:
	s_or_b64 exec, exec, s[6:7]
	s_and_saveexec_b64 s[6:7], s[4:5]
	s_cbranch_execz .LBB4_2390
.LBB4_2389:
	v_mov_b32_e32 v9, 7
	v_and_b32_sdwa v10, v1, v9 dst_sel:DWORD dst_unused:UNUSED_PAD src0_sel:WORD_1 src1_sel:DWORD
	v_ffbh_u32_e32 v12, v10
	v_mov_b32_e32 v11, 3
	v_min_u32_e32 v12, 32, v12
	v_lshrrev_b16_sdwa v11, v11, v1 dst_sel:DWORD dst_unused:UNUSED_PAD src0_sel:DWORD src1_sel:WORD_1
	v_subrev_u32_e32 v13, 28, v12
	v_and_b32_e32 v11, 15, v11
	v_lshlrev_b32_e32 v13, v13, v10
	v_sub_u32_e32 v12, 29, v12
	v_and_b32_e32 v13, 7, v13
	v_cmp_eq_u16_e32 vcc, 0, v11
	v_lshrrev_b16_sdwa v9, v9, v1 dst_sel:DWORD dst_unused:UNUSED_PAD src0_sel:DWORD src1_sel:WORD_1
	v_cndmask_b32_e32 v10, v10, v13, vcc
	v_cndmask_b32_e32 v11, v11, v12, vcc
	v_mov_b32_e32 v12, 0x3b800000
	v_lshlrev_b32_e32 v10, 20, v10
	v_lshlrev_b32_e32 v9, 31, v9
	v_lshl_add_u32 v11, v11, 23, v12
	v_or3_b32 v9, v9, v11, v10
.LBB4_2390:
	s_or_b64 exec, exec, s[6:7]
	v_mov_b32_e32 v10, 8
	v_lshrrev_b16_sdwa v11, v10, v1 dst_sel:DWORD dst_unused:UNUSED_PAD src0_sel:DWORD src1_sel:WORD_1
	s_movk_i32 s4, 0x7f
	v_cmp_lt_i16_e32 vcc, s4, v11
	s_mov_b64 s[4:5], 0
                                        ; implicit-def: $sgpr10
	s_and_saveexec_b64 s[6:7], vcc
	s_xor_b64 s[6:7], exec, s[6:7]
	s_cbranch_execnz .LBB4_2647
; %bb.2391:
	s_or_saveexec_b64 s[6:7], s[6:7]
	v_mov_b32_e32 v10, s10
	s_xor_b64 exec, exec, s[6:7]
	s_cbranch_execnz .LBB4_2650
.LBB4_2392:
	s_or_b64 exec, exec, s[6:7]
	s_and_saveexec_b64 s[6:7], s[4:5]
	s_cbranch_execz .LBB4_2394
.LBB4_2393:
	v_mov_b32_e32 v10, 8
	v_lshrrev_b16_sdwa v10, v10, v1 dst_sel:DWORD dst_unused:UNUSED_PAD src0_sel:DWORD src1_sel:WORD_1
	v_and_b32_e32 v10, 7, v10
	v_mov_b32_e32 v11, 15
	v_mov_b32_e32 v12, 11
	v_lshrrev_b16_sdwa v11, v11, v1 dst_sel:DWORD dst_unused:UNUSED_PAD src0_sel:DWORD src1_sel:WORD_1
	v_lshrrev_b16_sdwa v1, v12, v1 dst_sel:DWORD dst_unused:UNUSED_PAD src0_sel:DWORD src1_sel:WORD_1
	v_ffbh_u32_e32 v12, v10
	v_min_u32_e32 v12, 32, v12
	v_subrev_u32_e32 v13, 28, v12
	v_and_b32_e32 v1, 15, v1
	v_lshlrev_b32_e32 v13, v13, v10
	v_sub_u32_e32 v12, 29, v12
	v_and_b32_e32 v13, 7, v13
	v_cmp_eq_u16_e32 vcc, 0, v1
	v_cndmask_b32_e32 v10, v10, v13, vcc
	v_cndmask_b32_e32 v1, v1, v12, vcc
	v_mov_b32_e32 v12, 0x3b800000
	v_lshlrev_b32_e32 v10, 20, v10
	v_lshlrev_b32_e32 v11, 31, v11
	v_lshl_add_u32 v1, v1, 23, v12
	v_or3_b32 v10, v11, v1, v10
.LBB4_2394:
	s_or_b64 exec, exec, s[6:7]
	s_movk_i32 s4, 0x7f
	v_cmp_gt_i16_sdwa s[6:7], v2, s4 src0_sel:BYTE_0 src1_sel:DWORD
	s_mov_b64 s[4:5], 0
                                        ; implicit-def: $sgpr10
	s_and_saveexec_b64 s[8:9], s[6:7]
	s_xor_b64 s[6:7], exec, s[8:9]
	s_cbranch_execnz .LBB4_2651
; %bb.2395:
	s_or_saveexec_b64 s[6:7], s[6:7]
	v_mov_b32_e32 v1, s10
	s_xor_b64 exec, exec, s[6:7]
	s_cbranch_execnz .LBB4_2654
.LBB4_2396:
	s_or_b64 exec, exec, s[6:7]
	s_and_saveexec_b64 s[6:7], s[4:5]
	s_cbranch_execz .LBB4_2398
.LBB4_2397:
	v_and_b32_e32 v1, 7, v2
	v_ffbh_u32_e32 v13, v1
	v_min_u32_e32 v13, 32, v13
	v_lshrrev_b16_e32 v12, 3, v2
	v_subrev_u32_e32 v14, 28, v13
	v_and_b32_e32 v12, 15, v12
	v_lshlrev_b32_e32 v14, v14, v1
	v_sub_u32_e32 v13, 29, v13
	v_and_b32_e32 v14, 7, v14
	v_cmp_eq_u16_e32 vcc, 0, v12
	v_lshrrev_b16_e32 v11, 7, v2
	v_cndmask_b32_e32 v1, v1, v14, vcc
	v_cndmask_b32_e32 v12, v12, v13, vcc
	v_mov_b32_e32 v13, 0x3b800000
	v_lshlrev_b32_e32 v1, 20, v1
	v_lshlrev_b32_e32 v11, 31, v11
	v_lshl_add_u32 v12, v12, 23, v13
	v_or3_b32 v1, v11, v12, v1
.LBB4_2398:
	s_or_b64 exec, exec, s[6:7]
	s_movk_i32 s4, 0x7f
	v_cmp_gt_i16_sdwa s[6:7], v2, s4 src0_sel:BYTE_1 src1_sel:DWORD
	s_mov_b64 s[4:5], 0
                                        ; implicit-def: $sgpr10
	s_and_saveexec_b64 s[8:9], s[6:7]
	s_xor_b64 s[6:7], exec, s[8:9]
	s_cbranch_execnz .LBB4_2655
; %bb.2399:
	s_or_saveexec_b64 s[6:7], s[6:7]
	v_mov_b32_e32 v11, s10
	s_xor_b64 exec, exec, s[6:7]
	s_cbranch_execnz .LBB4_2658
.LBB4_2400:
	s_or_b64 exec, exec, s[6:7]
	s_and_saveexec_b64 s[6:7], s[4:5]
	s_cbranch_execz .LBB4_2402
.LBB4_2401:
	v_mov_b32_e32 v11, 7
	v_and_b32_sdwa v11, v2, v11 dst_sel:DWORD dst_unused:UNUSED_PAD src0_sel:BYTE_1 src1_sel:DWORD
	v_ffbh_u32_e32 v14, v11
	v_min_u32_e32 v14, 32, v14
	v_lshrrev_b16_e32 v13, 11, v2
	v_subrev_u32_e32 v15, 28, v14
	v_and_b32_e32 v13, 15, v13
	v_lshlrev_b32_e32 v15, v15, v11
	v_sub_u32_e32 v14, 29, v14
	v_and_b32_e32 v15, 7, v15
	v_cmp_eq_u16_e32 vcc, 0, v13
	v_lshrrev_b16_e32 v12, 15, v2
	v_cndmask_b32_e32 v11, v11, v15, vcc
	v_cndmask_b32_e32 v13, v13, v14, vcc
	v_mov_b32_e32 v14, 0x3b800000
	v_lshlrev_b32_e32 v11, 20, v11
	v_lshlrev_b32_e32 v12, 31, v12
	v_lshl_add_u32 v13, v13, 23, v14
	v_or3_b32 v11, v12, v13, v11
.LBB4_2402:
	s_or_b64 exec, exec, s[6:7]
	s_movk_i32 s4, 0xff
	v_and_b32_sdwa v13, v2, s4 dst_sel:DWORD dst_unused:UNUSED_PAD src0_sel:WORD_1 src1_sel:DWORD
	s_movk_i32 s4, 0x7f
	v_cmp_lt_i16_e32 vcc, s4, v13
	s_mov_b64 s[4:5], 0
                                        ; implicit-def: $sgpr10
	s_and_saveexec_b64 s[6:7], vcc
	s_xor_b64 s[6:7], exec, s[6:7]
	s_cbranch_execnz .LBB4_2659
; %bb.2403:
	s_or_saveexec_b64 s[6:7], s[6:7]
	v_mov_b32_e32 v12, s10
	s_xor_b64 exec, exec, s[6:7]
	s_cbranch_execnz .LBB4_2662
.LBB4_2404:
	s_or_b64 exec, exec, s[6:7]
	s_and_saveexec_b64 s[6:7], s[4:5]
	s_cbranch_execz .LBB4_2406
.LBB4_2405:
	v_mov_b32_e32 v12, 7
	v_and_b32_sdwa v13, v2, v12 dst_sel:DWORD dst_unused:UNUSED_PAD src0_sel:WORD_1 src1_sel:DWORD
	v_ffbh_u32_e32 v15, v13
	v_mov_b32_e32 v14, 3
	v_min_u32_e32 v15, 32, v15
	v_lshrrev_b16_sdwa v14, v14, v2 dst_sel:DWORD dst_unused:UNUSED_PAD src0_sel:DWORD src1_sel:WORD_1
	v_subrev_u32_e32 v16, 28, v15
	v_and_b32_e32 v14, 15, v14
	v_lshlrev_b32_e32 v16, v16, v13
	v_sub_u32_e32 v15, 29, v15
	v_and_b32_e32 v16, 7, v16
	v_cmp_eq_u16_e32 vcc, 0, v14
	v_lshrrev_b16_sdwa v12, v12, v2 dst_sel:DWORD dst_unused:UNUSED_PAD src0_sel:DWORD src1_sel:WORD_1
	v_cndmask_b32_e32 v13, v13, v16, vcc
	v_cndmask_b32_e32 v14, v14, v15, vcc
	v_mov_b32_e32 v15, 0x3b800000
	v_lshlrev_b32_e32 v13, 20, v13
	v_lshlrev_b32_e32 v12, 31, v12
	v_lshl_add_u32 v14, v14, 23, v15
	v_or3_b32 v12, v12, v14, v13
.LBB4_2406:
	s_or_b64 exec, exec, s[6:7]
	v_mov_b32_e32 v13, 8
	v_lshrrev_b16_sdwa v14, v13, v2 dst_sel:DWORD dst_unused:UNUSED_PAD src0_sel:DWORD src1_sel:WORD_1
	s_movk_i32 s4, 0x7f
	v_cmp_lt_i16_e32 vcc, s4, v14
	s_mov_b64 s[4:5], 0
                                        ; implicit-def: $sgpr10
	s_and_saveexec_b64 s[6:7], vcc
	s_xor_b64 s[6:7], exec, s[6:7]
	s_cbranch_execnz .LBB4_2663
; %bb.2407:
	s_or_saveexec_b64 s[6:7], s[6:7]
	v_mov_b32_e32 v13, s10
	s_xor_b64 exec, exec, s[6:7]
	s_cbranch_execnz .LBB4_2666
.LBB4_2408:
	s_or_b64 exec, exec, s[6:7]
	s_and_saveexec_b64 s[6:7], s[4:5]
	s_cbranch_execz .LBB4_2410
.LBB4_2409:
	v_mov_b32_e32 v13, 8
	v_lshrrev_b16_sdwa v13, v13, v2 dst_sel:DWORD dst_unused:UNUSED_PAD src0_sel:DWORD src1_sel:WORD_1
	v_and_b32_e32 v13, 7, v13
	v_mov_b32_e32 v14, 15
	v_mov_b32_e32 v15, 11
	v_lshrrev_b16_sdwa v14, v14, v2 dst_sel:DWORD dst_unused:UNUSED_PAD src0_sel:DWORD src1_sel:WORD_1
	v_lshrrev_b16_sdwa v2, v15, v2 dst_sel:DWORD dst_unused:UNUSED_PAD src0_sel:DWORD src1_sel:WORD_1
	v_ffbh_u32_e32 v15, v13
	v_min_u32_e32 v15, 32, v15
	v_subrev_u32_e32 v16, 28, v15
	v_and_b32_e32 v2, 15, v2
	v_lshlrev_b32_e32 v16, v16, v13
	v_sub_u32_e32 v15, 29, v15
	v_and_b32_e32 v16, 7, v16
	v_cmp_eq_u16_e32 vcc, 0, v2
	v_cndmask_b32_e32 v13, v13, v16, vcc
	v_cndmask_b32_e32 v2, v2, v15, vcc
	v_mov_b32_e32 v15, 0x3b800000
	v_lshlrev_b32_e32 v13, 20, v13
	v_lshlrev_b32_e32 v14, 31, v14
	v_lshl_add_u32 v2, v2, 23, v15
	v_or3_b32 v13, v14, v2, v13
.LBB4_2410:
	s_or_b64 exec, exec, s[6:7]
	s_movk_i32 s4, 0x7f
	v_cmp_gt_i16_sdwa s[6:7], v3, s4 src0_sel:BYTE_0 src1_sel:DWORD
	s_mov_b64 s[4:5], 0
                                        ; implicit-def: $sgpr10
	s_and_saveexec_b64 s[8:9], s[6:7]
	s_xor_b64 s[6:7], exec, s[8:9]
	s_cbranch_execnz .LBB4_2667
; %bb.2411:
	s_or_saveexec_b64 s[6:7], s[6:7]
	v_mov_b32_e32 v2, s10
	s_xor_b64 exec, exec, s[6:7]
	s_cbranch_execnz .LBB4_2670
.LBB4_2412:
	s_or_b64 exec, exec, s[6:7]
	s_and_saveexec_b64 s[6:7], s[4:5]
	s_cbranch_execz .LBB4_2414
.LBB4_2413:
	v_and_b32_e32 v2, 7, v3
	v_ffbh_u32_e32 v16, v2
	v_min_u32_e32 v16, 32, v16
	v_lshrrev_b16_e32 v15, 3, v3
	v_subrev_u32_e32 v17, 28, v16
	v_and_b32_e32 v15, 15, v15
	v_lshlrev_b32_e32 v17, v17, v2
	v_sub_u32_e32 v16, 29, v16
	v_and_b32_e32 v17, 7, v17
	v_cmp_eq_u16_e32 vcc, 0, v15
	v_lshrrev_b16_e32 v14, 7, v3
	v_cndmask_b32_e32 v2, v2, v17, vcc
	v_cndmask_b32_e32 v15, v15, v16, vcc
	v_mov_b32_e32 v16, 0x3b800000
	v_lshlrev_b32_e32 v2, 20, v2
	v_lshlrev_b32_e32 v14, 31, v14
	v_lshl_add_u32 v15, v15, 23, v16
	v_or3_b32 v2, v14, v15, v2
.LBB4_2414:
	s_or_b64 exec, exec, s[6:7]
	s_movk_i32 s4, 0x7f
	v_cmp_gt_i16_sdwa s[6:7], v3, s4 src0_sel:BYTE_1 src1_sel:DWORD
	s_mov_b64 s[4:5], 0
                                        ; implicit-def: $sgpr10
	s_and_saveexec_b64 s[8:9], s[6:7]
	s_xor_b64 s[6:7], exec, s[8:9]
	s_cbranch_execnz .LBB4_2671
; %bb.2415:
	s_or_saveexec_b64 s[6:7], s[6:7]
	v_mov_b32_e32 v14, s10
	s_xor_b64 exec, exec, s[6:7]
	s_cbranch_execnz .LBB4_2674
.LBB4_2416:
	s_or_b64 exec, exec, s[6:7]
	s_and_saveexec_b64 s[6:7], s[4:5]
	s_cbranch_execz .LBB4_2418
.LBB4_2417:
	v_mov_b32_e32 v14, 7
	v_and_b32_sdwa v14, v3, v14 dst_sel:DWORD dst_unused:UNUSED_PAD src0_sel:BYTE_1 src1_sel:DWORD
	v_ffbh_u32_e32 v17, v14
	v_min_u32_e32 v17, 32, v17
	v_lshrrev_b16_e32 v16, 11, v3
	v_subrev_u32_e32 v18, 28, v17
	v_and_b32_e32 v16, 15, v16
	v_lshlrev_b32_e32 v18, v18, v14
	v_sub_u32_e32 v17, 29, v17
	v_and_b32_e32 v18, 7, v18
	v_cmp_eq_u16_e32 vcc, 0, v16
	v_lshrrev_b16_e32 v15, 15, v3
	v_cndmask_b32_e32 v14, v14, v18, vcc
	v_cndmask_b32_e32 v16, v16, v17, vcc
	v_mov_b32_e32 v17, 0x3b800000
	v_lshlrev_b32_e32 v14, 20, v14
	v_lshlrev_b32_e32 v15, 31, v15
	v_lshl_add_u32 v16, v16, 23, v17
	v_or3_b32 v14, v15, v16, v14
.LBB4_2418:
	s_or_b64 exec, exec, s[6:7]
	s_movk_i32 s4, 0xff
	v_and_b32_sdwa v16, v3, s4 dst_sel:DWORD dst_unused:UNUSED_PAD src0_sel:WORD_1 src1_sel:DWORD
	s_movk_i32 s4, 0x7f
	v_cmp_lt_i16_e32 vcc, s4, v16
	s_mov_b64 s[4:5], 0
                                        ; implicit-def: $sgpr10
	s_and_saveexec_b64 s[6:7], vcc
	s_xor_b64 s[6:7], exec, s[6:7]
	s_cbranch_execnz .LBB4_2675
; %bb.2419:
	s_or_saveexec_b64 s[6:7], s[6:7]
	v_mov_b32_e32 v15, s10
	s_xor_b64 exec, exec, s[6:7]
	s_cbranch_execnz .LBB4_2678
.LBB4_2420:
	s_or_b64 exec, exec, s[6:7]
	s_and_saveexec_b64 s[6:7], s[4:5]
	s_cbranch_execz .LBB4_2422
.LBB4_2421:
	v_mov_b32_e32 v15, 7
	v_and_b32_sdwa v16, v3, v15 dst_sel:DWORD dst_unused:UNUSED_PAD src0_sel:WORD_1 src1_sel:DWORD
	v_ffbh_u32_e32 v18, v16
	v_mov_b32_e32 v17, 3
	v_min_u32_e32 v18, 32, v18
	v_lshrrev_b16_sdwa v17, v17, v3 dst_sel:DWORD dst_unused:UNUSED_PAD src0_sel:DWORD src1_sel:WORD_1
	v_subrev_u32_e32 v19, 28, v18
	v_and_b32_e32 v17, 15, v17
	v_lshlrev_b32_e32 v19, v19, v16
	v_sub_u32_e32 v18, 29, v18
	v_and_b32_e32 v19, 7, v19
	v_cmp_eq_u16_e32 vcc, 0, v17
	v_lshrrev_b16_sdwa v15, v15, v3 dst_sel:DWORD dst_unused:UNUSED_PAD src0_sel:DWORD src1_sel:WORD_1
	v_cndmask_b32_e32 v16, v16, v19, vcc
	v_cndmask_b32_e32 v17, v17, v18, vcc
	v_mov_b32_e32 v18, 0x3b800000
	v_lshlrev_b32_e32 v16, 20, v16
	v_lshlrev_b32_e32 v15, 31, v15
	v_lshl_add_u32 v17, v17, 23, v18
	v_or3_b32 v15, v15, v17, v16
.LBB4_2422:
	s_or_b64 exec, exec, s[6:7]
	v_mov_b32_e32 v16, 8
	v_lshrrev_b16_sdwa v17, v16, v3 dst_sel:DWORD dst_unused:UNUSED_PAD src0_sel:DWORD src1_sel:WORD_1
	s_movk_i32 s4, 0x7f
	v_cmp_lt_i16_e32 vcc, s4, v17
	s_mov_b64 s[4:5], 0
                                        ; implicit-def: $sgpr10
	s_and_saveexec_b64 s[6:7], vcc
	s_xor_b64 s[6:7], exec, s[6:7]
	s_cbranch_execnz .LBB4_2679
; %bb.2423:
	s_or_saveexec_b64 s[6:7], s[6:7]
	v_mov_b32_e32 v16, s10
	s_xor_b64 exec, exec, s[6:7]
	s_cbranch_execnz .LBB4_2682
.LBB4_2424:
	s_or_b64 exec, exec, s[6:7]
	s_and_saveexec_b64 s[6:7], s[4:5]
	s_cbranch_execz .LBB4_2426
.LBB4_2425:
	v_mov_b32_e32 v16, 8
	v_lshrrev_b16_sdwa v16, v16, v3 dst_sel:DWORD dst_unused:UNUSED_PAD src0_sel:DWORD src1_sel:WORD_1
	v_and_b32_e32 v16, 7, v16
	v_mov_b32_e32 v17, 15
	v_mov_b32_e32 v18, 11
	v_lshrrev_b16_sdwa v17, v17, v3 dst_sel:DWORD dst_unused:UNUSED_PAD src0_sel:DWORD src1_sel:WORD_1
	v_lshrrev_b16_sdwa v3, v18, v3 dst_sel:DWORD dst_unused:UNUSED_PAD src0_sel:DWORD src1_sel:WORD_1
	v_ffbh_u32_e32 v18, v16
	v_min_u32_e32 v18, 32, v18
	v_subrev_u32_e32 v19, 28, v18
	v_and_b32_e32 v3, 15, v3
	v_lshlrev_b32_e32 v19, v19, v16
	v_sub_u32_e32 v18, 29, v18
	v_and_b32_e32 v19, 7, v19
	v_cmp_eq_u16_e32 vcc, 0, v3
	v_cndmask_b32_e32 v16, v16, v19, vcc
	v_cndmask_b32_e32 v3, v3, v18, vcc
	v_mov_b32_e32 v18, 0x3b800000
	v_lshlrev_b32_e32 v16, 20, v16
	v_lshlrev_b32_e32 v17, 31, v17
	v_lshl_add_u32 v3, v3, 23, v18
	v_or3_b32 v16, v17, v3, v16
.LBB4_2426:
	s_or_b64 exec, exec, s[6:7]
	v_cvt_pkrtz_f16_f32 v3, v4, v5
	v_cvt_pkrtz_f16_f32 v4, v6, v7
	;; [unrolled: 1-line block ×8, first 2 shown]
	buffer_store_dword v4, off, s[0:3], s33 offset:228
	buffer_store_dword v3, off, s[0:3], s33 offset:224
	;; [unrolled: 1-line block ×8, first 2 shown]
	; sched_barrier mask(0x00000000)
	; wave barrier
	; sched_barrier mask(0x00000000)
	flat_load_dwordx4 a[20:23], v[100:101]
	s_nop 0
	buffer_load_dword v0, off, s[0:3], s33
	buffer_load_dword v1, off, s[0:3], s33 offset:4
	buffer_load_dword v2, off, s[0:3], s33 offset:8
	;; [unrolled: 1-line block ×7, first 2 shown]
	s_waitcnt vmcnt(0) lgkmcnt(0)
	v_mfma_f32_16x16x16f16 a[20:23], v[80:81], v[0:1], a[20:23]
	v_mfma_f32_16x16x16f16 a[20:23], v[82:83], v[2:3], a[20:23]
	;; [unrolled: 1-line block ×4, first 2 shown]
	s_nop 7
	s_nop 2
	flat_store_dwordx4 v[100:101], a[20:23]
	; sched_barrier mask(0x00000000)
	s_setprio 1
	; sched_barrier mask(0x00000000)
	buffer_load_dword v0, off, s[0:3], s33 offset:152
	buffer_load_dword v2, off, s[0:3], s33 offset:144
	buffer_load_dword v4, off, s[0:3], s33 offset:136
	buffer_load_dword v7, off, s[0:3], s33 offset:132
	buffer_load_dword v6, off, s[0:3], s33 offset:128
	flat_load_dwordx4 a[20:23], v[100:101] offset:16
	buffer_load_dword v8, off, s[0:3], s33
	buffer_load_dword v9, off, s[0:3], s33 offset:4
	flat_load_dwordx4 a[24:27], v[100:101] offset:32
	flat_load_dwordx4 a[28:31], v[100:101]
	flat_load_dwordx4 a[32:35], v[100:101] offset:48
	buffer_load_dword v10, off, s[0:3], s33 offset:8
	buffer_load_dword v11, off, s[0:3], s33 offset:12
	;; [unrolled: 1-line block ×6, first 2 shown]
	s_waitcnt vmcnt(0) lgkmcnt(0)
	v_mfma_f32_16x16x16f16 a[20:23], v[80:81], v[6:7], a[20:23]
	v_mfma_f32_16x16x16f16 a[24:27], a[16:17], v[8:9], a[24:27]
	;; [unrolled: 1-line block ×3, first 2 shown]
	buffer_load_dword v6, off, s[0:3], s33 offset:32
	buffer_load_dword v7, off, s[0:3], s33 offset:36
	;; [unrolled: 1-line block ×11, first 2 shown]
	v_mfma_f32_16x16x16f16 a[24:27], a[18:19], v[10:11], a[24:27]
	v_mfma_f32_16x16x16f16 a[24:27], a[12:13], v[12:13], a[24:27]
	;; [unrolled: 1-line block ×3, first 2 shown]
	s_waitcnt vmcnt(9)
	v_mfma_f32_16x16x16f16 a[24:27], a[8:9], v[6:7], a[24:27]
	s_waitcnt vmcnt(2)
	v_mfma_f32_16x16x16f16 a[20:23], v[82:83], v[4:5], a[20:23]
	v_mfma_f32_16x16x16f16 a[16:19], a[18:19], v[4:5], a[32:35]
	s_waitcnt vmcnt(1)
	v_mfma_f32_16x16x16f16 a[20:23], v[68:69], v[2:3], a[20:23]
	;; [unrolled: 3-line block ×3, first 2 shown]
	v_mfma_f32_16x16x16f16 a[12:15], a[14:15], v[0:1], a[16:19]
	buffer_load_dword v0, off, s[0:3], s33 offset:184
	buffer_load_dword v2, off, s[0:3], s33 offset:176
	;; [unrolled: 1-line block ×8, first 2 shown]
	v_mfma_f32_16x16x16f16 a[24:27], a[10:11], v[8:9], a[24:27]
	v_mfma_f32_16x16x16f16 a[24:27], a[4:5], v[16:17], a[24:27]
	v_mfma_f32_16x16x16f16 a[28:31], v[64:65], v[6:7], a[28:31]
	v_mfma_f32_16x16x16f16 a[24:27], a[6:7], v[18:19], a[24:27]
	s_waitcnt vmcnt(3)
	v_mfma_f32_16x16x16f16 a[20:23], v[64:65], v[10:11], a[20:23]
	v_mfma_f32_16x16x16f16 a[12:15], a[8:9], v[10:11], a[12:15]
	s_waitcnt vmcnt(2)
	v_mfma_f32_16x16x16f16 a[20:23], v[66:67], v[4:5], a[20:23]
	v_mfma_f32_16x16x16f16 a[8:11], a[10:11], v[4:5], a[12:15]
	;; [unrolled: 3-line block ×4, first 2 shown]
	buffer_load_dword v0, off, s[0:3], s33 offset:88
	buffer_load_dword v2, off, s[0:3], s33 offset:80
	;; [unrolled: 1-line block ×8, first 2 shown]
	v_mfma_f32_16x16x16f16 a[16:19], v[66:67], v[8:9], a[28:31]
	buffer_load_dword v8, off, s[0:3], s33 offset:216
	buffer_load_dword v10, off, s[0:3], s33 offset:208
	;; [unrolled: 1-line block ×8, first 2 shown]
	v_mfma_f32_16x16x16f16 a[16:19], v[52:53], v[16:17], a[16:19]
	v_mfma_f32_16x16x16f16 a[16:19], v[54:55], v[18:19], a[16:19]
	s_waitcnt vmcnt(11)
	v_mfma_f32_16x16x16f16 a[8:11], v[48:49], v[6:7], a[16:19]
	v_mfma_f32_16x16x16f16 a[16:19], a[0:1], v[6:7], a[24:27]
	s_waitcnt vmcnt(3)
	v_mfma_f32_16x16x16f16 a[12:15], v[48:49], v[14:15], a[20:23]
	v_mfma_f32_16x16x16f16 a[4:7], a[0:1], v[14:15], a[4:7]
	v_mfma_f32_16x16x16f16 a[8:11], v[50:51], v[4:5], a[8:11]
	v_mfma_f32_16x16x16f16 a[16:19], a[2:3], v[4:5], a[16:19]
	s_waitcnt vmcnt(2)
	v_mfma_f32_16x16x16f16 a[12:15], v[50:51], v[12:13], a[12:15]
	v_mfma_f32_16x16x16f16 a[0:3], a[2:3], v[12:13], a[4:7]
	;; [unrolled: 5-line block ×3, first 2 shown]
	v_mfma_f32_16x16x16f16 a[8:11], v[38:39], v[0:1], a[8:11]
	v_mfma_f32_16x16x16f16 a[16:19], v[116:117], v[0:1], a[16:19]
	buffer_load_dword v0, off, s[0:3], s33 offset:96
	buffer_load_dword v1, off, s[0:3], s33 offset:100
	;; [unrolled: 1-line block ×8, first 2 shown]
	s_waitcnt vmcnt(8)
	v_mfma_f32_16x16x16f16 a[12:15], v[38:39], v[8:9], a[12:15]
	v_mfma_f32_16x16x16f16 a[0:3], v[116:117], v[8:9], a[0:3]
	buffer_load_dword v8, off, s[0:3], s33 offset:248
	buffer_load_dword v10, off, s[0:3], s33 offset:240
	;; [unrolled: 1-line block ×8, first 2 shown]
	s_waitcnt vmcnt(14)
	v_mfma_f32_16x16x16f16 a[4:7], v[32:33], v[0:1], a[8:11]
	s_waitcnt vmcnt(3)
	v_mfma_f32_16x16x16f16 a[8:11], v[32:33], v[14:15], a[12:15]
	v_mfma_f32_16x16x16f16 a[12:15], v[84:85], v[0:1], a[16:19]
	v_mfma_f32_16x16x16f16 a[4:7], v[34:35], v[2:3], a[4:7]
	s_waitcnt vmcnt(2)
	v_mfma_f32_16x16x16f16 a[8:11], v[34:35], v[12:13], a[8:11]
	v_mfma_f32_16x16x16f16 a[12:15], v[86:87], v[2:3], a[12:15]
	;; [unrolled: 4-line block ×3, first 2 shown]
	v_mfma_f32_16x16x16f16 a[4:7], v[30:31], v[6:7], a[4:7]
	s_waitcnt vmcnt(0)
	v_mfma_f32_16x16x16f16 a[8:11], v[30:31], v[8:9], a[8:11]
	flat_store_dwordx4 v[100:101], a[0:3] offset:48
	s_nop 7
	flat_store_dwordx4 v[100:101], a[4:7]
	s_nop 0
	flat_store_dwordx4 v[100:101], a[8:11] offset:16
	v_mfma_f32_16x16x16f16 a[0:3], v[98:99], v[6:7], a[12:15]
	s_nop 7
	s_nop 2
	flat_store_dwordx4 v[100:101], a[0:3] offset:32
	; sched_barrier mask(0x00000000)
	s_waitcnt lgkmcnt(0)
	; wave barrier
	; sched_barrier mask(0x00000000)
	flat_load_dwordx4 a[0:3], v[100:101] offset:48
	s_waitcnt vmcnt(0) lgkmcnt(0)
	v_mfma_f32_16x16x16f16 a[0:3], v[84:85], v[14:15], a[0:3]
	v_mfma_f32_16x16x16f16 a[0:3], v[86:87], v[12:13], a[0:3]
	;; [unrolled: 1-line block ×4, first 2 shown]
	s_nop 7
	s_nop 2
	flat_store_dwordx4 v[100:101], a[0:3] offset:48
	; sched_barrier mask(0x00000000)
	s_setprio 0
	; sched_barrier mask(0x00000000)
	v_readlane_b32 s30, v127, 0
	v_readlane_b32 s31, v127, 1
	s_or_saveexec_b64 s[4:5], -1
	buffer_load_dword v127, off, s[0:3], s33 offset:256 ; 4-byte Folded Reload
	s_mov_b64 exec, s[4:5]
	s_addk_i32 s32, 0xbc00
	s_mov_b32 s33, s28
	s_waitcnt vmcnt(0) lgkmcnt(0)
	s_setpc_b64 s[30:31]
.LBB4_2427:
	s_movk_i32 s4, 0x80
	v_cmp_eq_u16_sdwa s[12:13], v0, s4 src0_sel:BYTE_0 src1_sel:DWORD
	s_mov_b64 s[4:5], -1
                                        ; implicit-def: $sgpr10
	s_and_saveexec_b64 s[8:9], s[12:13]
; %bb.2428:
	s_mov_b32 s10, 0x7f800001
	s_xor_b64 s[4:5], exec, -1
; %bb.2429:
	s_or_b64 exec, exec, s[8:9]
	s_and_b64 s[4:5], s[4:5], exec
	s_or_saveexec_b64 s[6:7], s[6:7]
	v_mov_b32_e32 v6, s10
	s_xor_b64 exec, exec, s[6:7]
	s_cbranch_execz .LBB4_2172
.LBB4_2430:
	v_mov_b32_e32 v6, 0
	v_cmp_ne_u16_sdwa s[8:9], v0, v6 src0_sel:BYTE_0 src1_sel:DWORD
	s_andn2_b64 s[4:5], s[4:5], exec
	s_and_b64 s[8:9], s[8:9], exec
	s_or_b64 s[4:5], s[4:5], s[8:9]
	s_or_b64 exec, exec, s[6:7]
	s_and_saveexec_b64 s[6:7], s[4:5]
	s_cbranch_execnz .LBB4_2173
	s_branch .LBB4_2174
.LBB4_2431:
	s_movk_i32 s4, 0x80
	v_cmp_eq_u16_sdwa s[12:13], v0, s4 src0_sel:BYTE_1 src1_sel:DWORD
	s_mov_b64 s[4:5], -1
                                        ; implicit-def: $sgpr10
	s_and_saveexec_b64 s[8:9], s[12:13]
; %bb.2432:
	s_mov_b32 s10, 0x7f800001
	s_xor_b64 s[4:5], exec, -1
; %bb.2433:
	s_or_b64 exec, exec, s[8:9]
	s_and_b64 s[4:5], s[4:5], exec
	s_or_saveexec_b64 s[6:7], s[6:7]
	v_mov_b32_e32 v7, s10
	s_xor_b64 exec, exec, s[6:7]
	s_cbranch_execz .LBB4_2176
.LBB4_2434:
	v_mov_b32_e32 v7, 0
	v_cmp_ne_u16_sdwa s[8:9], v0, v7 src0_sel:BYTE_1 src1_sel:DWORD
	s_andn2_b64 s[4:5], s[4:5], exec
	s_and_b64 s[8:9], s[8:9], exec
	s_or_b64 s[4:5], s[4:5], s[8:9]
	s_or_b64 exec, exec, s[6:7]
	s_and_saveexec_b64 s[6:7], s[4:5]
	s_cbranch_execnz .LBB4_2177
	s_branch .LBB4_2178
.LBB4_2435:
	s_movk_i32 s4, 0x80
	v_cmp_eq_u16_e32 vcc, s4, v15
	s_mov_b64 s[4:5], -1
                                        ; implicit-def: $sgpr10
	s_and_saveexec_b64 s[8:9], vcc
; %bb.2436:
	s_mov_b32 s10, 0x7f800001
	s_xor_b64 s[4:5], exec, -1
; %bb.2437:
	s_or_b64 exec, exec, s[8:9]
	s_and_b64 s[4:5], s[4:5], exec
                                        ; implicit-def: $vgpr15
	s_or_saveexec_b64 s[6:7], s[6:7]
	v_mov_b32_e32 v14, s10
	s_xor_b64 exec, exec, s[6:7]
	s_cbranch_execz .LBB4_2180
.LBB4_2438:
	v_cmp_ne_u16_e32 vcc, 0, v15
	s_andn2_b64 s[4:5], s[4:5], exec
	s_and_b64 s[8:9], vcc, exec
	v_mov_b32_e32 v14, 0
	s_or_b64 s[4:5], s[4:5], s[8:9]
	s_or_b64 exec, exec, s[6:7]
	s_and_saveexec_b64 s[6:7], s[4:5]
	s_cbranch_execnz .LBB4_2181
	s_branch .LBB4_2182
.LBB4_2439:
	s_movk_i32 s4, 0x80
	v_cmp_eq_u16_e32 vcc, s4, v16
	s_mov_b64 s[4:5], -1
                                        ; implicit-def: $sgpr10
	s_and_saveexec_b64 s[8:9], vcc
; %bb.2440:
	s_mov_b32 s10, 0x7f800001
	s_xor_b64 s[4:5], exec, -1
; %bb.2441:
	s_or_b64 exec, exec, s[8:9]
	s_and_b64 s[4:5], s[4:5], exec
                                        ; implicit-def: $vgpr16
	s_or_saveexec_b64 s[6:7], s[6:7]
	v_mov_b32_e32 v15, s10
	s_xor_b64 exec, exec, s[6:7]
	s_cbranch_execz .LBB4_2184
.LBB4_2442:
	v_cmp_ne_u16_e32 vcc, 0, v16
	s_andn2_b64 s[4:5], s[4:5], exec
	s_and_b64 s[8:9], vcc, exec
	v_mov_b32_e32 v15, 0
	s_or_b64 s[4:5], s[4:5], s[8:9]
	s_or_b64 exec, exec, s[6:7]
	s_and_saveexec_b64 s[6:7], s[4:5]
	s_cbranch_execnz .LBB4_2185
	s_branch .LBB4_2186
.LBB4_2443:
	s_movk_i32 s4, 0x80
	v_cmp_eq_u16_sdwa s[12:13], v1, s4 src0_sel:BYTE_0 src1_sel:DWORD
	s_mov_b64 s[4:5], -1
                                        ; implicit-def: $sgpr10
	s_and_saveexec_b64 s[8:9], s[12:13]
; %bb.2444:
	s_mov_b32 s10, 0x7f800001
	s_xor_b64 s[4:5], exec, -1
; %bb.2445:
	s_or_b64 exec, exec, s[8:9]
	s_and_b64 s[4:5], s[4:5], exec
	s_or_saveexec_b64 s[6:7], s[6:7]
	v_mov_b32_e32 v0, s10
	s_xor_b64 exec, exec, s[6:7]
	s_cbranch_execz .LBB4_2188
.LBB4_2446:
	v_mov_b32_e32 v0, 0
	v_cmp_ne_u16_sdwa s[8:9], v1, v0 src0_sel:BYTE_0 src1_sel:DWORD
	s_andn2_b64 s[4:5], s[4:5], exec
	s_and_b64 s[8:9], s[8:9], exec
	s_or_b64 s[4:5], s[4:5], s[8:9]
	s_or_b64 exec, exec, s[6:7]
	s_and_saveexec_b64 s[6:7], s[4:5]
	s_cbranch_execnz .LBB4_2189
	s_branch .LBB4_2190
.LBB4_2447:
	s_movk_i32 s4, 0x80
	v_cmp_eq_u16_sdwa s[12:13], v1, s4 src0_sel:BYTE_1 src1_sel:DWORD
	s_mov_b64 s[4:5], -1
                                        ; implicit-def: $sgpr10
	s_and_saveexec_b64 s[8:9], s[12:13]
; %bb.2448:
	s_mov_b32 s10, 0x7f800001
	s_xor_b64 s[4:5], exec, -1
; %bb.2449:
	s_or_b64 exec, exec, s[8:9]
	s_and_b64 s[4:5], s[4:5], exec
	s_or_saveexec_b64 s[6:7], s[6:7]
	v_mov_b32_e32 v16, s10
	s_xor_b64 exec, exec, s[6:7]
	s_cbranch_execz .LBB4_2192
.LBB4_2450:
	v_mov_b32_e32 v16, 0
	v_cmp_ne_u16_sdwa s[8:9], v1, v16 src0_sel:BYTE_1 src1_sel:DWORD
	s_andn2_b64 s[4:5], s[4:5], exec
	s_and_b64 s[8:9], s[8:9], exec
	s_or_b64 s[4:5], s[4:5], s[8:9]
	s_or_b64 exec, exec, s[6:7]
	s_and_saveexec_b64 s[6:7], s[4:5]
	s_cbranch_execnz .LBB4_2193
	s_branch .LBB4_2194
.LBB4_2451:
	s_movk_i32 s4, 0x80
	v_cmp_eq_u16_e32 vcc, s4, v18
	s_mov_b64 s[4:5], -1
                                        ; implicit-def: $sgpr10
	s_and_saveexec_b64 s[8:9], vcc
; %bb.2452:
	s_mov_b32 s10, 0x7f800001
	s_xor_b64 s[4:5], exec, -1
; %bb.2453:
	s_or_b64 exec, exec, s[8:9]
	s_and_b64 s[4:5], s[4:5], exec
                                        ; implicit-def: $vgpr18
	s_or_saveexec_b64 s[6:7], s[6:7]
	v_mov_b32_e32 v17, s10
	s_xor_b64 exec, exec, s[6:7]
	s_cbranch_execz .LBB4_2196
.LBB4_2454:
	v_cmp_ne_u16_e32 vcc, 0, v18
	s_andn2_b64 s[4:5], s[4:5], exec
	s_and_b64 s[8:9], vcc, exec
	v_mov_b32_e32 v17, 0
	s_or_b64 s[4:5], s[4:5], s[8:9]
	s_or_b64 exec, exec, s[6:7]
	s_and_saveexec_b64 s[6:7], s[4:5]
	s_cbranch_execnz .LBB4_2197
	s_branch .LBB4_2198
.LBB4_2455:
	s_movk_i32 s4, 0x80
	v_cmp_eq_u16_e32 vcc, s4, v19
	s_mov_b64 s[4:5], -1
                                        ; implicit-def: $sgpr10
	s_and_saveexec_b64 s[8:9], vcc
; %bb.2456:
	s_mov_b32 s10, 0x7f800001
	s_xor_b64 s[4:5], exec, -1
; %bb.2457:
	s_or_b64 exec, exec, s[8:9]
	s_and_b64 s[4:5], s[4:5], exec
                                        ; implicit-def: $vgpr19
	s_or_saveexec_b64 s[6:7], s[6:7]
	v_mov_b32_e32 v18, s10
	s_xor_b64 exec, exec, s[6:7]
	s_cbranch_execz .LBB4_2200
.LBB4_2458:
	v_cmp_ne_u16_e32 vcc, 0, v19
	s_andn2_b64 s[4:5], s[4:5], exec
	s_and_b64 s[8:9], vcc, exec
	v_mov_b32_e32 v18, 0
	s_or_b64 s[4:5], s[4:5], s[8:9]
	s_or_b64 exec, exec, s[6:7]
	s_and_saveexec_b64 s[6:7], s[4:5]
	s_cbranch_execnz .LBB4_2201
	s_branch .LBB4_2202
.LBB4_2459:
	s_movk_i32 s4, 0x80
	v_cmp_eq_u16_sdwa s[12:13], v2, s4 src0_sel:BYTE_0 src1_sel:DWORD
	s_mov_b64 s[4:5], -1
                                        ; implicit-def: $sgpr10
	s_and_saveexec_b64 s[8:9], s[12:13]
; %bb.2460:
	s_mov_b32 s10, 0x7f800001
	s_xor_b64 s[4:5], exec, -1
; %bb.2461:
	s_or_b64 exec, exec, s[8:9]
	s_and_b64 s[4:5], s[4:5], exec
	s_or_saveexec_b64 s[6:7], s[6:7]
	v_mov_b32_e32 v1, s10
	s_xor_b64 exec, exec, s[6:7]
	s_cbranch_execz .LBB4_2204
.LBB4_2462:
	v_mov_b32_e32 v1, 0
	v_cmp_ne_u16_sdwa s[8:9], v2, v1 src0_sel:BYTE_0 src1_sel:DWORD
	s_andn2_b64 s[4:5], s[4:5], exec
	s_and_b64 s[8:9], s[8:9], exec
	s_or_b64 s[4:5], s[4:5], s[8:9]
	s_or_b64 exec, exec, s[6:7]
	s_and_saveexec_b64 s[6:7], s[4:5]
	s_cbranch_execnz .LBB4_2205
	s_branch .LBB4_2206
.LBB4_2463:
	s_movk_i32 s4, 0x80
	v_cmp_eq_u16_sdwa s[12:13], v2, s4 src0_sel:BYTE_1 src1_sel:DWORD
	s_mov_b64 s[4:5], -1
                                        ; implicit-def: $sgpr10
	s_and_saveexec_b64 s[8:9], s[12:13]
; %bb.2464:
	s_mov_b32 s10, 0x7f800001
	s_xor_b64 s[4:5], exec, -1
; %bb.2465:
	s_or_b64 exec, exec, s[8:9]
	s_and_b64 s[4:5], s[4:5], exec
	s_or_saveexec_b64 s[6:7], s[6:7]
	v_mov_b32_e32 v19, s10
	s_xor_b64 exec, exec, s[6:7]
	s_cbranch_execz .LBB4_2208
.LBB4_2466:
	v_mov_b32_e32 v19, 0
	v_cmp_ne_u16_sdwa s[8:9], v2, v19 src0_sel:BYTE_1 src1_sel:DWORD
	s_andn2_b64 s[4:5], s[4:5], exec
	s_and_b64 s[8:9], s[8:9], exec
	s_or_b64 s[4:5], s[4:5], s[8:9]
	s_or_b64 exec, exec, s[6:7]
	s_and_saveexec_b64 s[6:7], s[4:5]
	s_cbranch_execnz .LBB4_2209
	s_branch .LBB4_2210
.LBB4_2467:
	s_movk_i32 s4, 0x80
	v_cmp_eq_u16_e32 vcc, s4, v21
	s_mov_b64 s[4:5], -1
                                        ; implicit-def: $sgpr10
	s_and_saveexec_b64 s[8:9], vcc
; %bb.2468:
	s_mov_b32 s10, 0x7f800001
	s_xor_b64 s[4:5], exec, -1
; %bb.2469:
	s_or_b64 exec, exec, s[8:9]
	s_and_b64 s[4:5], s[4:5], exec
                                        ; implicit-def: $vgpr21
	s_or_saveexec_b64 s[6:7], s[6:7]
	v_mov_b32_e32 v20, s10
	s_xor_b64 exec, exec, s[6:7]
	s_cbranch_execz .LBB4_2212
.LBB4_2470:
	v_cmp_ne_u16_e32 vcc, 0, v21
	s_andn2_b64 s[4:5], s[4:5], exec
	s_and_b64 s[8:9], vcc, exec
	v_mov_b32_e32 v20, 0
	s_or_b64 s[4:5], s[4:5], s[8:9]
	s_or_b64 exec, exec, s[6:7]
	s_and_saveexec_b64 s[6:7], s[4:5]
	s_cbranch_execnz .LBB4_2213
	s_branch .LBB4_2214
.LBB4_2471:
	s_movk_i32 s4, 0x80
	v_cmp_eq_u16_e32 vcc, s4, v22
	s_mov_b64 s[4:5], -1
                                        ; implicit-def: $sgpr10
	s_and_saveexec_b64 s[8:9], vcc
; %bb.2472:
	s_mov_b32 s10, 0x7f800001
	s_xor_b64 s[4:5], exec, -1
; %bb.2473:
	s_or_b64 exec, exec, s[8:9]
	s_and_b64 s[4:5], s[4:5], exec
                                        ; implicit-def: $vgpr22
	s_or_saveexec_b64 s[6:7], s[6:7]
	v_mov_b32_e32 v21, s10
	s_xor_b64 exec, exec, s[6:7]
	s_cbranch_execz .LBB4_2216
.LBB4_2474:
	v_cmp_ne_u16_e32 vcc, 0, v22
	s_andn2_b64 s[4:5], s[4:5], exec
	s_and_b64 s[8:9], vcc, exec
	v_mov_b32_e32 v21, 0
	s_or_b64 s[4:5], s[4:5], s[8:9]
	s_or_b64 exec, exec, s[6:7]
	s_and_saveexec_b64 s[6:7], s[4:5]
	s_cbranch_execnz .LBB4_2217
	s_branch .LBB4_2218
.LBB4_2475:
	s_movk_i32 s4, 0x80
	v_cmp_eq_u16_sdwa s[12:13], v3, s4 src0_sel:BYTE_0 src1_sel:DWORD
	s_mov_b64 s[4:5], -1
                                        ; implicit-def: $sgpr10
	s_and_saveexec_b64 s[8:9], s[12:13]
; %bb.2476:
	s_mov_b32 s10, 0x7f800001
	s_xor_b64 s[4:5], exec, -1
; %bb.2477:
	s_or_b64 exec, exec, s[8:9]
	s_and_b64 s[4:5], s[4:5], exec
	s_or_saveexec_b64 s[6:7], s[6:7]
	v_mov_b32_e32 v2, s10
	s_xor_b64 exec, exec, s[6:7]
	s_cbranch_execz .LBB4_2220
.LBB4_2478:
	v_mov_b32_e32 v2, 0
	v_cmp_ne_u16_sdwa s[8:9], v3, v2 src0_sel:BYTE_0 src1_sel:DWORD
	s_andn2_b64 s[4:5], s[4:5], exec
	s_and_b64 s[8:9], s[8:9], exec
	s_or_b64 s[4:5], s[4:5], s[8:9]
	s_or_b64 exec, exec, s[6:7]
	s_and_saveexec_b64 s[6:7], s[4:5]
	s_cbranch_execnz .LBB4_2221
	s_branch .LBB4_2222
.LBB4_2479:
	s_movk_i32 s4, 0x80
	v_cmp_eq_u16_sdwa s[12:13], v3, s4 src0_sel:BYTE_1 src1_sel:DWORD
	s_mov_b64 s[4:5], -1
                                        ; implicit-def: $sgpr10
	s_and_saveexec_b64 s[8:9], s[12:13]
; %bb.2480:
	s_mov_b32 s10, 0x7f800001
	s_xor_b64 s[4:5], exec, -1
; %bb.2481:
	s_or_b64 exec, exec, s[8:9]
	s_and_b64 s[4:5], s[4:5], exec
	s_or_saveexec_b64 s[6:7], s[6:7]
	v_mov_b32_e32 v22, s10
	s_xor_b64 exec, exec, s[6:7]
	s_cbranch_execz .LBB4_2224
.LBB4_2482:
	v_mov_b32_e32 v22, 0
	v_cmp_ne_u16_sdwa s[8:9], v3, v22 src0_sel:BYTE_1 src1_sel:DWORD
	s_andn2_b64 s[4:5], s[4:5], exec
	s_and_b64 s[8:9], s[8:9], exec
	s_or_b64 s[4:5], s[4:5], s[8:9]
	s_or_b64 exec, exec, s[6:7]
	s_and_saveexec_b64 s[6:7], s[4:5]
	s_cbranch_execnz .LBB4_2225
	s_branch .LBB4_2226
.LBB4_2483:
	s_movk_i32 s4, 0x80
	v_cmp_eq_u16_e32 vcc, s4, v24
	s_mov_b64 s[4:5], -1
                                        ; implicit-def: $sgpr10
	s_and_saveexec_b64 s[8:9], vcc
; %bb.2484:
	s_mov_b32 s10, 0x7f800001
	s_xor_b64 s[4:5], exec, -1
; %bb.2485:
	s_or_b64 exec, exec, s[8:9]
	s_and_b64 s[4:5], s[4:5], exec
                                        ; implicit-def: $vgpr24
	s_or_saveexec_b64 s[6:7], s[6:7]
	v_mov_b32_e32 v23, s10
	s_xor_b64 exec, exec, s[6:7]
	s_cbranch_execz .LBB4_2228
.LBB4_2486:
	v_cmp_ne_u16_e32 vcc, 0, v24
	s_andn2_b64 s[4:5], s[4:5], exec
	s_and_b64 s[8:9], vcc, exec
	v_mov_b32_e32 v23, 0
	s_or_b64 s[4:5], s[4:5], s[8:9]
	s_or_b64 exec, exec, s[6:7]
	s_and_saveexec_b64 s[6:7], s[4:5]
	s_cbranch_execnz .LBB4_2229
	s_branch .LBB4_2230
.LBB4_2487:
	s_movk_i32 s4, 0x80
	v_cmp_eq_u16_e32 vcc, s4, v25
	s_mov_b64 s[4:5], -1
                                        ; implicit-def: $sgpr10
	s_and_saveexec_b64 s[8:9], vcc
; %bb.2488:
	s_mov_b32 s10, 0x7f800001
	s_xor_b64 s[4:5], exec, -1
; %bb.2489:
	s_or_b64 exec, exec, s[8:9]
	s_and_b64 s[4:5], s[4:5], exec
                                        ; implicit-def: $vgpr25
	s_or_saveexec_b64 s[6:7], s[6:7]
	v_mov_b32_e32 v24, s10
	s_xor_b64 exec, exec, s[6:7]
	s_cbranch_execz .LBB4_2232
.LBB4_2490:
	v_cmp_ne_u16_e32 vcc, 0, v25
	s_andn2_b64 s[4:5], s[4:5], exec
	s_and_b64 s[8:9], vcc, exec
	v_mov_b32_e32 v24, 0
	s_or_b64 s[4:5], s[4:5], s[8:9]
	s_or_b64 exec, exec, s[6:7]
	s_and_saveexec_b64 s[6:7], s[4:5]
	s_cbranch_execnz .LBB4_2233
	s_branch .LBB4_2234
.LBB4_2491:
	s_movk_i32 s4, 0x80
	v_cmp_eq_u16_sdwa s[12:13], v0, s4 src0_sel:BYTE_0 src1_sel:DWORD
	s_mov_b64 s[4:5], -1
                                        ; implicit-def: $sgpr10
	s_and_saveexec_b64 s[8:9], s[12:13]
; %bb.2492:
	s_mov_b32 s10, 0x7f800001
	s_xor_b64 s[4:5], exec, -1
; %bb.2493:
	s_or_b64 exec, exec, s[8:9]
	s_and_b64 s[4:5], s[4:5], exec
	s_or_saveexec_b64 s[6:7], s[6:7]
	v_mov_b32_e32 v11, s10
	s_xor_b64 exec, exec, s[6:7]
	s_cbranch_execz .LBB4_2236
.LBB4_2494:
	v_mov_b32_e32 v11, 0
	v_cmp_ne_u16_sdwa s[8:9], v0, v11 src0_sel:BYTE_0 src1_sel:DWORD
	s_andn2_b64 s[4:5], s[4:5], exec
	s_and_b64 s[8:9], s[8:9], exec
	s_or_b64 s[4:5], s[4:5], s[8:9]
	s_or_b64 exec, exec, s[6:7]
	s_and_saveexec_b64 s[6:7], s[4:5]
	s_cbranch_execnz .LBB4_2237
	s_branch .LBB4_2238
.LBB4_2495:
	s_movk_i32 s4, 0x80
	v_cmp_eq_u16_sdwa s[12:13], v0, s4 src0_sel:BYTE_1 src1_sel:DWORD
	s_mov_b64 s[4:5], -1
                                        ; implicit-def: $sgpr10
	s_and_saveexec_b64 s[8:9], s[12:13]
; %bb.2496:
	s_mov_b32 s10, 0x7f800001
	s_xor_b64 s[4:5], exec, -1
; %bb.2497:
	s_or_b64 exec, exec, s[8:9]
	s_and_b64 s[4:5], s[4:5], exec
	s_or_saveexec_b64 s[6:7], s[6:7]
	v_mov_b32_e32 v12, s10
	s_xor_b64 exec, exec, s[6:7]
	s_cbranch_execz .LBB4_2240
.LBB4_2498:
	v_mov_b32_e32 v12, 0
	v_cmp_ne_u16_sdwa s[8:9], v0, v12 src0_sel:BYTE_1 src1_sel:DWORD
	s_andn2_b64 s[4:5], s[4:5], exec
	s_and_b64 s[8:9], s[8:9], exec
	s_or_b64 s[4:5], s[4:5], s[8:9]
	s_or_b64 exec, exec, s[6:7]
	s_and_saveexec_b64 s[6:7], s[4:5]
	s_cbranch_execnz .LBB4_2241
	s_branch .LBB4_2242
.LBB4_2499:
	s_movk_i32 s4, 0x80
	v_cmp_eq_u16_e32 vcc, s4, v14
	s_mov_b64 s[4:5], -1
                                        ; implicit-def: $sgpr10
	s_and_saveexec_b64 s[8:9], vcc
; %bb.2500:
	s_mov_b32 s10, 0x7f800001
	s_xor_b64 s[4:5], exec, -1
; %bb.2501:
	s_or_b64 exec, exec, s[8:9]
	s_and_b64 s[4:5], s[4:5], exec
                                        ; implicit-def: $vgpr14
	s_or_saveexec_b64 s[6:7], s[6:7]
	v_mov_b32_e32 v13, s10
	s_xor_b64 exec, exec, s[6:7]
	s_cbranch_execz .LBB4_2244
.LBB4_2502:
	v_cmp_ne_u16_e32 vcc, 0, v14
	s_andn2_b64 s[4:5], s[4:5], exec
	s_and_b64 s[8:9], vcc, exec
	v_mov_b32_e32 v13, 0
	s_or_b64 s[4:5], s[4:5], s[8:9]
	s_or_b64 exec, exec, s[6:7]
	s_and_saveexec_b64 s[6:7], s[4:5]
	s_cbranch_execnz .LBB4_2245
	s_branch .LBB4_2246
.LBB4_2503:
	s_movk_i32 s4, 0x80
	v_cmp_eq_u16_e32 vcc, s4, v15
	s_mov_b64 s[4:5], -1
                                        ; implicit-def: $sgpr10
	s_and_saveexec_b64 s[8:9], vcc
; %bb.2504:
	s_mov_b32 s10, 0x7f800001
	s_xor_b64 s[4:5], exec, -1
; %bb.2505:
	s_or_b64 exec, exec, s[8:9]
	s_and_b64 s[4:5], s[4:5], exec
                                        ; implicit-def: $vgpr15
	s_or_saveexec_b64 s[6:7], s[6:7]
	v_mov_b32_e32 v14, s10
	s_xor_b64 exec, exec, s[6:7]
	s_cbranch_execz .LBB4_2248
.LBB4_2506:
	v_cmp_ne_u16_e32 vcc, 0, v15
	s_andn2_b64 s[4:5], s[4:5], exec
	s_and_b64 s[8:9], vcc, exec
	v_mov_b32_e32 v14, 0
	s_or_b64 s[4:5], s[4:5], s[8:9]
	s_or_b64 exec, exec, s[6:7]
	s_and_saveexec_b64 s[6:7], s[4:5]
	s_cbranch_execnz .LBB4_2249
	s_branch .LBB4_2250
.LBB4_2507:
	s_movk_i32 s4, 0x80
	v_cmp_eq_u16_sdwa s[12:13], v1, s4 src0_sel:BYTE_0 src1_sel:DWORD
	s_mov_b64 s[4:5], -1
                                        ; implicit-def: $sgpr10
	s_and_saveexec_b64 s[8:9], s[12:13]
; %bb.2508:
	s_mov_b32 s10, 0x7f800001
	s_xor_b64 s[4:5], exec, -1
; %bb.2509:
	s_or_b64 exec, exec, s[8:9]
	s_and_b64 s[4:5], s[4:5], exec
	s_or_saveexec_b64 s[6:7], s[6:7]
	v_mov_b32_e32 v0, s10
	s_xor_b64 exec, exec, s[6:7]
	s_cbranch_execz .LBB4_2252
.LBB4_2510:
	v_mov_b32_e32 v0, 0
	v_cmp_ne_u16_sdwa s[8:9], v1, v0 src0_sel:BYTE_0 src1_sel:DWORD
	s_andn2_b64 s[4:5], s[4:5], exec
	s_and_b64 s[8:9], s[8:9], exec
	s_or_b64 s[4:5], s[4:5], s[8:9]
	s_or_b64 exec, exec, s[6:7]
	s_and_saveexec_b64 s[6:7], s[4:5]
	s_cbranch_execnz .LBB4_2253
	s_branch .LBB4_2254
.LBB4_2511:
	s_movk_i32 s4, 0x80
	v_cmp_eq_u16_sdwa s[12:13], v1, s4 src0_sel:BYTE_1 src1_sel:DWORD
	s_mov_b64 s[4:5], -1
                                        ; implicit-def: $sgpr10
	s_and_saveexec_b64 s[8:9], s[12:13]
; %bb.2512:
	s_mov_b32 s10, 0x7f800001
	s_xor_b64 s[4:5], exec, -1
; %bb.2513:
	s_or_b64 exec, exec, s[8:9]
	s_and_b64 s[4:5], s[4:5], exec
	s_or_saveexec_b64 s[6:7], s[6:7]
	v_mov_b32_e32 v15, s10
	s_xor_b64 exec, exec, s[6:7]
	s_cbranch_execz .LBB4_2256
.LBB4_2514:
	v_mov_b32_e32 v15, 0
	v_cmp_ne_u16_sdwa s[8:9], v1, v15 src0_sel:BYTE_1 src1_sel:DWORD
	s_andn2_b64 s[4:5], s[4:5], exec
	s_and_b64 s[8:9], s[8:9], exec
	s_or_b64 s[4:5], s[4:5], s[8:9]
	s_or_b64 exec, exec, s[6:7]
	s_and_saveexec_b64 s[6:7], s[4:5]
	s_cbranch_execnz .LBB4_2257
	s_branch .LBB4_2258
.LBB4_2515:
	s_movk_i32 s4, 0x80
	v_cmp_eq_u16_e32 vcc, s4, v17
	s_mov_b64 s[4:5], -1
                                        ; implicit-def: $sgpr10
	s_and_saveexec_b64 s[8:9], vcc
; %bb.2516:
	s_mov_b32 s10, 0x7f800001
	s_xor_b64 s[4:5], exec, -1
; %bb.2517:
	s_or_b64 exec, exec, s[8:9]
	s_and_b64 s[4:5], s[4:5], exec
                                        ; implicit-def: $vgpr17
	s_or_saveexec_b64 s[6:7], s[6:7]
	v_mov_b32_e32 v16, s10
	s_xor_b64 exec, exec, s[6:7]
	s_cbranch_execz .LBB4_2260
.LBB4_2518:
	v_cmp_ne_u16_e32 vcc, 0, v17
	s_andn2_b64 s[4:5], s[4:5], exec
	s_and_b64 s[8:9], vcc, exec
	v_mov_b32_e32 v16, 0
	s_or_b64 s[4:5], s[4:5], s[8:9]
	s_or_b64 exec, exec, s[6:7]
	s_and_saveexec_b64 s[6:7], s[4:5]
	s_cbranch_execnz .LBB4_2261
	s_branch .LBB4_2262
.LBB4_2519:
	s_movk_i32 s4, 0x80
	v_cmp_eq_u16_e32 vcc, s4, v18
	s_mov_b64 s[4:5], -1
                                        ; implicit-def: $sgpr10
	s_and_saveexec_b64 s[8:9], vcc
; %bb.2520:
	s_mov_b32 s10, 0x7f800001
	s_xor_b64 s[4:5], exec, -1
; %bb.2521:
	s_or_b64 exec, exec, s[8:9]
	s_and_b64 s[4:5], s[4:5], exec
                                        ; implicit-def: $vgpr18
	s_or_saveexec_b64 s[6:7], s[6:7]
	v_mov_b32_e32 v17, s10
	s_xor_b64 exec, exec, s[6:7]
	s_cbranch_execz .LBB4_2264
.LBB4_2522:
	v_cmp_ne_u16_e32 vcc, 0, v18
	s_andn2_b64 s[4:5], s[4:5], exec
	s_and_b64 s[8:9], vcc, exec
	v_mov_b32_e32 v17, 0
	s_or_b64 s[4:5], s[4:5], s[8:9]
	s_or_b64 exec, exec, s[6:7]
	s_and_saveexec_b64 s[6:7], s[4:5]
	s_cbranch_execnz .LBB4_2265
	s_branch .LBB4_2266
.LBB4_2523:
	s_movk_i32 s4, 0x80
	v_cmp_eq_u16_sdwa s[12:13], v2, s4 src0_sel:BYTE_0 src1_sel:DWORD
	s_mov_b64 s[4:5], -1
                                        ; implicit-def: $sgpr10
	s_and_saveexec_b64 s[8:9], s[12:13]
; %bb.2524:
	s_mov_b32 s10, 0x7f800001
	s_xor_b64 s[4:5], exec, -1
; %bb.2525:
	s_or_b64 exec, exec, s[8:9]
	s_and_b64 s[4:5], s[4:5], exec
	s_or_saveexec_b64 s[6:7], s[6:7]
	v_mov_b32_e32 v1, s10
	s_xor_b64 exec, exec, s[6:7]
	s_cbranch_execz .LBB4_2268
.LBB4_2526:
	v_mov_b32_e32 v1, 0
	v_cmp_ne_u16_sdwa s[8:9], v2, v1 src0_sel:BYTE_0 src1_sel:DWORD
	s_andn2_b64 s[4:5], s[4:5], exec
	s_and_b64 s[8:9], s[8:9], exec
	s_or_b64 s[4:5], s[4:5], s[8:9]
	s_or_b64 exec, exec, s[6:7]
	s_and_saveexec_b64 s[6:7], s[4:5]
	s_cbranch_execnz .LBB4_2269
	s_branch .LBB4_2270
.LBB4_2527:
	s_movk_i32 s4, 0x80
	v_cmp_eq_u16_sdwa s[12:13], v2, s4 src0_sel:BYTE_1 src1_sel:DWORD
	s_mov_b64 s[4:5], -1
                                        ; implicit-def: $sgpr10
	s_and_saveexec_b64 s[8:9], s[12:13]
; %bb.2528:
	s_mov_b32 s10, 0x7f800001
	s_xor_b64 s[4:5], exec, -1
; %bb.2529:
	s_or_b64 exec, exec, s[8:9]
	s_and_b64 s[4:5], s[4:5], exec
	s_or_saveexec_b64 s[6:7], s[6:7]
	v_mov_b32_e32 v18, s10
	s_xor_b64 exec, exec, s[6:7]
	s_cbranch_execz .LBB4_2272
.LBB4_2530:
	v_mov_b32_e32 v18, 0
	v_cmp_ne_u16_sdwa s[8:9], v2, v18 src0_sel:BYTE_1 src1_sel:DWORD
	s_andn2_b64 s[4:5], s[4:5], exec
	s_and_b64 s[8:9], s[8:9], exec
	s_or_b64 s[4:5], s[4:5], s[8:9]
	s_or_b64 exec, exec, s[6:7]
	s_and_saveexec_b64 s[6:7], s[4:5]
	s_cbranch_execnz .LBB4_2273
	s_branch .LBB4_2274
.LBB4_2531:
	s_movk_i32 s4, 0x80
	v_cmp_eq_u16_e32 vcc, s4, v20
	s_mov_b64 s[4:5], -1
                                        ; implicit-def: $sgpr10
	s_and_saveexec_b64 s[8:9], vcc
; %bb.2532:
	s_mov_b32 s10, 0x7f800001
	s_xor_b64 s[4:5], exec, -1
; %bb.2533:
	s_or_b64 exec, exec, s[8:9]
	s_and_b64 s[4:5], s[4:5], exec
                                        ; implicit-def: $vgpr20
	s_or_saveexec_b64 s[6:7], s[6:7]
	v_mov_b32_e32 v19, s10
	s_xor_b64 exec, exec, s[6:7]
	s_cbranch_execz .LBB4_2276
.LBB4_2534:
	v_cmp_ne_u16_e32 vcc, 0, v20
	s_andn2_b64 s[4:5], s[4:5], exec
	s_and_b64 s[8:9], vcc, exec
	v_mov_b32_e32 v19, 0
	s_or_b64 s[4:5], s[4:5], s[8:9]
	s_or_b64 exec, exec, s[6:7]
	s_and_saveexec_b64 s[6:7], s[4:5]
	s_cbranch_execnz .LBB4_2277
	s_branch .LBB4_2278
.LBB4_2535:
	s_movk_i32 s4, 0x80
	v_cmp_eq_u16_e32 vcc, s4, v21
	s_mov_b64 s[4:5], -1
                                        ; implicit-def: $sgpr10
	s_and_saveexec_b64 s[8:9], vcc
; %bb.2536:
	s_mov_b32 s10, 0x7f800001
	s_xor_b64 s[4:5], exec, -1
; %bb.2537:
	s_or_b64 exec, exec, s[8:9]
	s_and_b64 s[4:5], s[4:5], exec
                                        ; implicit-def: $vgpr21
	s_or_saveexec_b64 s[6:7], s[6:7]
	v_mov_b32_e32 v20, s10
	s_xor_b64 exec, exec, s[6:7]
	s_cbranch_execz .LBB4_2280
.LBB4_2538:
	v_cmp_ne_u16_e32 vcc, 0, v21
	s_andn2_b64 s[4:5], s[4:5], exec
	s_and_b64 s[8:9], vcc, exec
	v_mov_b32_e32 v20, 0
	s_or_b64 s[4:5], s[4:5], s[8:9]
	s_or_b64 exec, exec, s[6:7]
	s_and_saveexec_b64 s[6:7], s[4:5]
	s_cbranch_execnz .LBB4_2281
	s_branch .LBB4_2282
.LBB4_2539:
	s_movk_i32 s4, 0x80
	v_cmp_eq_u16_sdwa s[12:13], v3, s4 src0_sel:BYTE_0 src1_sel:DWORD
	s_mov_b64 s[4:5], -1
                                        ; implicit-def: $sgpr10
	s_and_saveexec_b64 s[8:9], s[12:13]
; %bb.2540:
	s_mov_b32 s10, 0x7f800001
	s_xor_b64 s[4:5], exec, -1
; %bb.2541:
	s_or_b64 exec, exec, s[8:9]
	s_and_b64 s[4:5], s[4:5], exec
	s_or_saveexec_b64 s[6:7], s[6:7]
	v_mov_b32_e32 v2, s10
	s_xor_b64 exec, exec, s[6:7]
	s_cbranch_execz .LBB4_2284
.LBB4_2542:
	v_mov_b32_e32 v2, 0
	v_cmp_ne_u16_sdwa s[8:9], v3, v2 src0_sel:BYTE_0 src1_sel:DWORD
	s_andn2_b64 s[4:5], s[4:5], exec
	s_and_b64 s[8:9], s[8:9], exec
	s_or_b64 s[4:5], s[4:5], s[8:9]
	s_or_b64 exec, exec, s[6:7]
	s_and_saveexec_b64 s[6:7], s[4:5]
	s_cbranch_execnz .LBB4_2285
	s_branch .LBB4_2286
.LBB4_2543:
	s_movk_i32 s4, 0x80
	v_cmp_eq_u16_sdwa s[12:13], v3, s4 src0_sel:BYTE_1 src1_sel:DWORD
	s_mov_b64 s[4:5], -1
                                        ; implicit-def: $sgpr10
	s_and_saveexec_b64 s[8:9], s[12:13]
; %bb.2544:
	s_mov_b32 s10, 0x7f800001
	s_xor_b64 s[4:5], exec, -1
; %bb.2545:
	s_or_b64 exec, exec, s[8:9]
	s_and_b64 s[4:5], s[4:5], exec
	s_or_saveexec_b64 s[6:7], s[6:7]
	v_mov_b32_e32 v21, s10
	s_xor_b64 exec, exec, s[6:7]
	s_cbranch_execz .LBB4_2288
.LBB4_2546:
	v_mov_b32_e32 v21, 0
	v_cmp_ne_u16_sdwa s[8:9], v3, v21 src0_sel:BYTE_1 src1_sel:DWORD
	s_andn2_b64 s[4:5], s[4:5], exec
	s_and_b64 s[8:9], s[8:9], exec
	s_or_b64 s[4:5], s[4:5], s[8:9]
	s_or_b64 exec, exec, s[6:7]
	s_and_saveexec_b64 s[6:7], s[4:5]
	s_cbranch_execnz .LBB4_2289
	s_branch .LBB4_2290
.LBB4_2547:
	s_movk_i32 s4, 0x80
	v_cmp_eq_u16_e32 vcc, s4, v23
	s_mov_b64 s[4:5], -1
                                        ; implicit-def: $sgpr10
	s_and_saveexec_b64 s[8:9], vcc
; %bb.2548:
	s_mov_b32 s10, 0x7f800001
	s_xor_b64 s[4:5], exec, -1
; %bb.2549:
	s_or_b64 exec, exec, s[8:9]
	s_and_b64 s[4:5], s[4:5], exec
                                        ; implicit-def: $vgpr23
	s_or_saveexec_b64 s[6:7], s[6:7]
	v_mov_b32_e32 v22, s10
	s_xor_b64 exec, exec, s[6:7]
	s_cbranch_execz .LBB4_2292
.LBB4_2550:
	v_cmp_ne_u16_e32 vcc, 0, v23
	s_andn2_b64 s[4:5], s[4:5], exec
	s_and_b64 s[8:9], vcc, exec
	v_mov_b32_e32 v22, 0
	s_or_b64 s[4:5], s[4:5], s[8:9]
	s_or_b64 exec, exec, s[6:7]
	s_and_saveexec_b64 s[6:7], s[4:5]
	s_cbranch_execnz .LBB4_2293
	s_branch .LBB4_2294
.LBB4_2551:
	s_movk_i32 s4, 0x80
	v_cmp_eq_u16_e32 vcc, s4, v24
	s_mov_b64 s[4:5], -1
                                        ; implicit-def: $sgpr10
	s_and_saveexec_b64 s[8:9], vcc
; %bb.2552:
	s_mov_b32 s10, 0x7f800001
	s_xor_b64 s[4:5], exec, -1
; %bb.2553:
	s_or_b64 exec, exec, s[8:9]
	s_and_b64 s[4:5], s[4:5], exec
                                        ; implicit-def: $vgpr24
	s_or_saveexec_b64 s[6:7], s[6:7]
	v_mov_b32_e32 v23, s10
	s_xor_b64 exec, exec, s[6:7]
	s_cbranch_execz .LBB4_2296
.LBB4_2554:
	v_cmp_ne_u16_e32 vcc, 0, v24
	s_andn2_b64 s[4:5], s[4:5], exec
	s_and_b64 s[8:9], vcc, exec
	v_mov_b32_e32 v23, 0
	s_or_b64 s[4:5], s[4:5], s[8:9]
	s_or_b64 exec, exec, s[6:7]
	s_and_saveexec_b64 s[6:7], s[4:5]
	s_cbranch_execnz .LBB4_2297
	s_branch .LBB4_2298
.LBB4_2555:
	s_movk_i32 s4, 0x80
	v_cmp_eq_u16_sdwa s[12:13], v0, s4 src0_sel:BYTE_0 src1_sel:DWORD
	s_mov_b64 s[4:5], -1
                                        ; implicit-def: $sgpr10
	s_and_saveexec_b64 s[8:9], s[12:13]
; %bb.2556:
	s_mov_b32 s10, 0x7f800001
	s_xor_b64 s[4:5], exec, -1
; %bb.2557:
	s_or_b64 exec, exec, s[8:9]
	s_and_b64 s[4:5], s[4:5], exec
	s_or_saveexec_b64 s[6:7], s[6:7]
	v_mov_b32_e32 v11, s10
	s_xor_b64 exec, exec, s[6:7]
	s_cbranch_execz .LBB4_2300
.LBB4_2558:
	v_mov_b32_e32 v11, 0
	v_cmp_ne_u16_sdwa s[8:9], v0, v11 src0_sel:BYTE_0 src1_sel:DWORD
	s_andn2_b64 s[4:5], s[4:5], exec
	s_and_b64 s[8:9], s[8:9], exec
	s_or_b64 s[4:5], s[4:5], s[8:9]
	s_or_b64 exec, exec, s[6:7]
	s_and_saveexec_b64 s[6:7], s[4:5]
	s_cbranch_execnz .LBB4_2301
	s_branch .LBB4_2302
.LBB4_2559:
	s_movk_i32 s4, 0x80
	v_cmp_eq_u16_sdwa s[12:13], v0, s4 src0_sel:BYTE_1 src1_sel:DWORD
	s_mov_b64 s[4:5], -1
                                        ; implicit-def: $sgpr10
	s_and_saveexec_b64 s[8:9], s[12:13]
; %bb.2560:
	s_mov_b32 s10, 0x7f800001
	s_xor_b64 s[4:5], exec, -1
; %bb.2561:
	s_or_b64 exec, exec, s[8:9]
	s_and_b64 s[4:5], s[4:5], exec
	s_or_saveexec_b64 s[6:7], s[6:7]
	v_mov_b32_e32 v12, s10
	s_xor_b64 exec, exec, s[6:7]
	s_cbranch_execz .LBB4_2304
.LBB4_2562:
	v_mov_b32_e32 v12, 0
	v_cmp_ne_u16_sdwa s[8:9], v0, v12 src0_sel:BYTE_1 src1_sel:DWORD
	s_andn2_b64 s[4:5], s[4:5], exec
	s_and_b64 s[8:9], s[8:9], exec
	s_or_b64 s[4:5], s[4:5], s[8:9]
	s_or_b64 exec, exec, s[6:7]
	s_and_saveexec_b64 s[6:7], s[4:5]
	s_cbranch_execnz .LBB4_2305
	s_branch .LBB4_2306
.LBB4_2563:
	s_movk_i32 s4, 0x80
	v_cmp_eq_u16_e32 vcc, s4, v14
	s_mov_b64 s[4:5], -1
                                        ; implicit-def: $sgpr10
	s_and_saveexec_b64 s[8:9], vcc
; %bb.2564:
	s_mov_b32 s10, 0x7f800001
	s_xor_b64 s[4:5], exec, -1
; %bb.2565:
	s_or_b64 exec, exec, s[8:9]
	s_and_b64 s[4:5], s[4:5], exec
                                        ; implicit-def: $vgpr14
	s_or_saveexec_b64 s[6:7], s[6:7]
	v_mov_b32_e32 v13, s10
	s_xor_b64 exec, exec, s[6:7]
	s_cbranch_execz .LBB4_2308
.LBB4_2566:
	v_cmp_ne_u16_e32 vcc, 0, v14
	s_andn2_b64 s[4:5], s[4:5], exec
	s_and_b64 s[8:9], vcc, exec
	v_mov_b32_e32 v13, 0
	s_or_b64 s[4:5], s[4:5], s[8:9]
	s_or_b64 exec, exec, s[6:7]
	s_and_saveexec_b64 s[6:7], s[4:5]
	s_cbranch_execnz .LBB4_2309
	s_branch .LBB4_2310
.LBB4_2567:
	s_movk_i32 s4, 0x80
	v_cmp_eq_u16_e32 vcc, s4, v15
	s_mov_b64 s[4:5], -1
                                        ; implicit-def: $sgpr10
	s_and_saveexec_b64 s[8:9], vcc
; %bb.2568:
	s_mov_b32 s10, 0x7f800001
	s_xor_b64 s[4:5], exec, -1
; %bb.2569:
	s_or_b64 exec, exec, s[8:9]
	s_and_b64 s[4:5], s[4:5], exec
                                        ; implicit-def: $vgpr15
	s_or_saveexec_b64 s[6:7], s[6:7]
	v_mov_b32_e32 v14, s10
	s_xor_b64 exec, exec, s[6:7]
	s_cbranch_execz .LBB4_2312
.LBB4_2570:
	v_cmp_ne_u16_e32 vcc, 0, v15
	s_andn2_b64 s[4:5], s[4:5], exec
	s_and_b64 s[8:9], vcc, exec
	v_mov_b32_e32 v14, 0
	s_or_b64 s[4:5], s[4:5], s[8:9]
	s_or_b64 exec, exec, s[6:7]
	s_and_saveexec_b64 s[6:7], s[4:5]
	s_cbranch_execnz .LBB4_2313
	s_branch .LBB4_2314
.LBB4_2571:
	s_movk_i32 s4, 0x80
	v_cmp_eq_u16_sdwa s[12:13], v1, s4 src0_sel:BYTE_0 src1_sel:DWORD
	s_mov_b64 s[4:5], -1
                                        ; implicit-def: $sgpr10
	s_and_saveexec_b64 s[8:9], s[12:13]
; %bb.2572:
	s_mov_b32 s10, 0x7f800001
	s_xor_b64 s[4:5], exec, -1
; %bb.2573:
	s_or_b64 exec, exec, s[8:9]
	s_and_b64 s[4:5], s[4:5], exec
	s_or_saveexec_b64 s[6:7], s[6:7]
	v_mov_b32_e32 v0, s10
	s_xor_b64 exec, exec, s[6:7]
	s_cbranch_execz .LBB4_2316
.LBB4_2574:
	v_mov_b32_e32 v0, 0
	v_cmp_ne_u16_sdwa s[8:9], v1, v0 src0_sel:BYTE_0 src1_sel:DWORD
	s_andn2_b64 s[4:5], s[4:5], exec
	s_and_b64 s[8:9], s[8:9], exec
	s_or_b64 s[4:5], s[4:5], s[8:9]
	s_or_b64 exec, exec, s[6:7]
	s_and_saveexec_b64 s[6:7], s[4:5]
	s_cbranch_execnz .LBB4_2317
	s_branch .LBB4_2318
.LBB4_2575:
	s_movk_i32 s4, 0x80
	v_cmp_eq_u16_sdwa s[12:13], v1, s4 src0_sel:BYTE_1 src1_sel:DWORD
	s_mov_b64 s[4:5], -1
                                        ; implicit-def: $sgpr10
	s_and_saveexec_b64 s[8:9], s[12:13]
; %bb.2576:
	s_mov_b32 s10, 0x7f800001
	s_xor_b64 s[4:5], exec, -1
; %bb.2577:
	s_or_b64 exec, exec, s[8:9]
	s_and_b64 s[4:5], s[4:5], exec
	s_or_saveexec_b64 s[6:7], s[6:7]
	v_mov_b32_e32 v15, s10
	s_xor_b64 exec, exec, s[6:7]
	s_cbranch_execz .LBB4_2320
.LBB4_2578:
	v_mov_b32_e32 v15, 0
	v_cmp_ne_u16_sdwa s[8:9], v1, v15 src0_sel:BYTE_1 src1_sel:DWORD
	s_andn2_b64 s[4:5], s[4:5], exec
	s_and_b64 s[8:9], s[8:9], exec
	s_or_b64 s[4:5], s[4:5], s[8:9]
	s_or_b64 exec, exec, s[6:7]
	s_and_saveexec_b64 s[6:7], s[4:5]
	s_cbranch_execnz .LBB4_2321
	s_branch .LBB4_2322
.LBB4_2579:
	s_movk_i32 s4, 0x80
	v_cmp_eq_u16_e32 vcc, s4, v17
	s_mov_b64 s[4:5], -1
                                        ; implicit-def: $sgpr10
	s_and_saveexec_b64 s[8:9], vcc
; %bb.2580:
	s_mov_b32 s10, 0x7f800001
	s_xor_b64 s[4:5], exec, -1
; %bb.2581:
	s_or_b64 exec, exec, s[8:9]
	s_and_b64 s[4:5], s[4:5], exec
                                        ; implicit-def: $vgpr17
	s_or_saveexec_b64 s[6:7], s[6:7]
	v_mov_b32_e32 v16, s10
	s_xor_b64 exec, exec, s[6:7]
	s_cbranch_execz .LBB4_2324
.LBB4_2582:
	v_cmp_ne_u16_e32 vcc, 0, v17
	s_andn2_b64 s[4:5], s[4:5], exec
	s_and_b64 s[8:9], vcc, exec
	v_mov_b32_e32 v16, 0
	s_or_b64 s[4:5], s[4:5], s[8:9]
	s_or_b64 exec, exec, s[6:7]
	s_and_saveexec_b64 s[6:7], s[4:5]
	s_cbranch_execnz .LBB4_2325
	s_branch .LBB4_2326
.LBB4_2583:
	s_movk_i32 s4, 0x80
	v_cmp_eq_u16_e32 vcc, s4, v18
	s_mov_b64 s[4:5], -1
                                        ; implicit-def: $sgpr10
	s_and_saveexec_b64 s[8:9], vcc
; %bb.2584:
	s_mov_b32 s10, 0x7f800001
	s_xor_b64 s[4:5], exec, -1
; %bb.2585:
	s_or_b64 exec, exec, s[8:9]
	s_and_b64 s[4:5], s[4:5], exec
                                        ; implicit-def: $vgpr18
	s_or_saveexec_b64 s[6:7], s[6:7]
	v_mov_b32_e32 v17, s10
	s_xor_b64 exec, exec, s[6:7]
	s_cbranch_execz .LBB4_2328
.LBB4_2586:
	v_cmp_ne_u16_e32 vcc, 0, v18
	s_andn2_b64 s[4:5], s[4:5], exec
	s_and_b64 s[8:9], vcc, exec
	v_mov_b32_e32 v17, 0
	s_or_b64 s[4:5], s[4:5], s[8:9]
	s_or_b64 exec, exec, s[6:7]
	s_and_saveexec_b64 s[6:7], s[4:5]
	s_cbranch_execnz .LBB4_2329
	s_branch .LBB4_2330
.LBB4_2587:
	s_movk_i32 s4, 0x80
	v_cmp_eq_u16_sdwa s[12:13], v2, s4 src0_sel:BYTE_0 src1_sel:DWORD
	s_mov_b64 s[4:5], -1
                                        ; implicit-def: $sgpr10
	s_and_saveexec_b64 s[8:9], s[12:13]
; %bb.2588:
	s_mov_b32 s10, 0x7f800001
	s_xor_b64 s[4:5], exec, -1
; %bb.2589:
	s_or_b64 exec, exec, s[8:9]
	s_and_b64 s[4:5], s[4:5], exec
	s_or_saveexec_b64 s[6:7], s[6:7]
	v_mov_b32_e32 v1, s10
	s_xor_b64 exec, exec, s[6:7]
	s_cbranch_execz .LBB4_2332
.LBB4_2590:
	v_mov_b32_e32 v1, 0
	v_cmp_ne_u16_sdwa s[8:9], v2, v1 src0_sel:BYTE_0 src1_sel:DWORD
	s_andn2_b64 s[4:5], s[4:5], exec
	s_and_b64 s[8:9], s[8:9], exec
	s_or_b64 s[4:5], s[4:5], s[8:9]
	s_or_b64 exec, exec, s[6:7]
	s_and_saveexec_b64 s[6:7], s[4:5]
	s_cbranch_execnz .LBB4_2333
	s_branch .LBB4_2334
.LBB4_2591:
	s_movk_i32 s4, 0x80
	v_cmp_eq_u16_sdwa s[12:13], v2, s4 src0_sel:BYTE_1 src1_sel:DWORD
	s_mov_b64 s[4:5], -1
                                        ; implicit-def: $sgpr10
	s_and_saveexec_b64 s[8:9], s[12:13]
; %bb.2592:
	s_mov_b32 s10, 0x7f800001
	s_xor_b64 s[4:5], exec, -1
; %bb.2593:
	s_or_b64 exec, exec, s[8:9]
	s_and_b64 s[4:5], s[4:5], exec
	s_or_saveexec_b64 s[6:7], s[6:7]
	v_mov_b32_e32 v18, s10
	s_xor_b64 exec, exec, s[6:7]
	s_cbranch_execz .LBB4_2336
.LBB4_2594:
	v_mov_b32_e32 v18, 0
	v_cmp_ne_u16_sdwa s[8:9], v2, v18 src0_sel:BYTE_1 src1_sel:DWORD
	s_andn2_b64 s[4:5], s[4:5], exec
	s_and_b64 s[8:9], s[8:9], exec
	s_or_b64 s[4:5], s[4:5], s[8:9]
	s_or_b64 exec, exec, s[6:7]
	s_and_saveexec_b64 s[6:7], s[4:5]
	s_cbranch_execnz .LBB4_2337
	s_branch .LBB4_2338
.LBB4_2595:
	s_movk_i32 s4, 0x80
	v_cmp_eq_u16_e32 vcc, s4, v20
	s_mov_b64 s[4:5], -1
                                        ; implicit-def: $sgpr10
	s_and_saveexec_b64 s[8:9], vcc
; %bb.2596:
	s_mov_b32 s10, 0x7f800001
	s_xor_b64 s[4:5], exec, -1
; %bb.2597:
	s_or_b64 exec, exec, s[8:9]
	s_and_b64 s[4:5], s[4:5], exec
                                        ; implicit-def: $vgpr20
	s_or_saveexec_b64 s[6:7], s[6:7]
	v_mov_b32_e32 v19, s10
	s_xor_b64 exec, exec, s[6:7]
	s_cbranch_execz .LBB4_2340
.LBB4_2598:
	v_cmp_ne_u16_e32 vcc, 0, v20
	s_andn2_b64 s[4:5], s[4:5], exec
	s_and_b64 s[8:9], vcc, exec
	v_mov_b32_e32 v19, 0
	s_or_b64 s[4:5], s[4:5], s[8:9]
	s_or_b64 exec, exec, s[6:7]
	s_and_saveexec_b64 s[6:7], s[4:5]
	s_cbranch_execnz .LBB4_2341
	s_branch .LBB4_2342
.LBB4_2599:
	s_movk_i32 s4, 0x80
	v_cmp_eq_u16_e32 vcc, s4, v21
	s_mov_b64 s[4:5], -1
                                        ; implicit-def: $sgpr10
	s_and_saveexec_b64 s[8:9], vcc
; %bb.2600:
	s_mov_b32 s10, 0x7f800001
	s_xor_b64 s[4:5], exec, -1
; %bb.2601:
	s_or_b64 exec, exec, s[8:9]
	s_and_b64 s[4:5], s[4:5], exec
                                        ; implicit-def: $vgpr21
	s_or_saveexec_b64 s[6:7], s[6:7]
	v_mov_b32_e32 v20, s10
	s_xor_b64 exec, exec, s[6:7]
	s_cbranch_execz .LBB4_2344
.LBB4_2602:
	v_cmp_ne_u16_e32 vcc, 0, v21
	s_andn2_b64 s[4:5], s[4:5], exec
	s_and_b64 s[8:9], vcc, exec
	v_mov_b32_e32 v20, 0
	s_or_b64 s[4:5], s[4:5], s[8:9]
	s_or_b64 exec, exec, s[6:7]
	s_and_saveexec_b64 s[6:7], s[4:5]
	s_cbranch_execnz .LBB4_2345
	s_branch .LBB4_2346
.LBB4_2603:
	s_movk_i32 s4, 0x80
	v_cmp_eq_u16_sdwa s[12:13], v3, s4 src0_sel:BYTE_0 src1_sel:DWORD
	s_mov_b64 s[4:5], -1
                                        ; implicit-def: $sgpr10
	s_and_saveexec_b64 s[8:9], s[12:13]
; %bb.2604:
	s_mov_b32 s10, 0x7f800001
	s_xor_b64 s[4:5], exec, -1
; %bb.2605:
	s_or_b64 exec, exec, s[8:9]
	s_and_b64 s[4:5], s[4:5], exec
	s_or_saveexec_b64 s[6:7], s[6:7]
	v_mov_b32_e32 v2, s10
	s_xor_b64 exec, exec, s[6:7]
	s_cbranch_execz .LBB4_2348
.LBB4_2606:
	v_mov_b32_e32 v2, 0
	v_cmp_ne_u16_sdwa s[8:9], v3, v2 src0_sel:BYTE_0 src1_sel:DWORD
	s_andn2_b64 s[4:5], s[4:5], exec
	s_and_b64 s[8:9], s[8:9], exec
	s_or_b64 s[4:5], s[4:5], s[8:9]
	s_or_b64 exec, exec, s[6:7]
	s_and_saveexec_b64 s[6:7], s[4:5]
	s_cbranch_execnz .LBB4_2349
	s_branch .LBB4_2350
.LBB4_2607:
	s_movk_i32 s4, 0x80
	v_cmp_eq_u16_sdwa s[12:13], v3, s4 src0_sel:BYTE_1 src1_sel:DWORD
	s_mov_b64 s[4:5], -1
                                        ; implicit-def: $sgpr10
	s_and_saveexec_b64 s[8:9], s[12:13]
; %bb.2608:
	s_mov_b32 s10, 0x7f800001
	s_xor_b64 s[4:5], exec, -1
; %bb.2609:
	s_or_b64 exec, exec, s[8:9]
	s_and_b64 s[4:5], s[4:5], exec
	s_or_saveexec_b64 s[6:7], s[6:7]
	v_mov_b32_e32 v21, s10
	s_xor_b64 exec, exec, s[6:7]
	s_cbranch_execz .LBB4_2352
.LBB4_2610:
	v_mov_b32_e32 v21, 0
	v_cmp_ne_u16_sdwa s[8:9], v3, v21 src0_sel:BYTE_1 src1_sel:DWORD
	s_andn2_b64 s[4:5], s[4:5], exec
	s_and_b64 s[8:9], s[8:9], exec
	s_or_b64 s[4:5], s[4:5], s[8:9]
	s_or_b64 exec, exec, s[6:7]
	s_and_saveexec_b64 s[6:7], s[4:5]
	s_cbranch_execnz .LBB4_2353
	s_branch .LBB4_2354
.LBB4_2611:
	s_movk_i32 s4, 0x80
	v_cmp_eq_u16_e32 vcc, s4, v23
	s_mov_b64 s[4:5], -1
                                        ; implicit-def: $sgpr10
	s_and_saveexec_b64 s[8:9], vcc
; %bb.2612:
	s_mov_b32 s10, 0x7f800001
	s_xor_b64 s[4:5], exec, -1
; %bb.2613:
	s_or_b64 exec, exec, s[8:9]
	s_and_b64 s[4:5], s[4:5], exec
                                        ; implicit-def: $vgpr23
	s_or_saveexec_b64 s[6:7], s[6:7]
	v_mov_b32_e32 v22, s10
	s_xor_b64 exec, exec, s[6:7]
	s_cbranch_execz .LBB4_2356
.LBB4_2614:
	v_cmp_ne_u16_e32 vcc, 0, v23
	s_andn2_b64 s[4:5], s[4:5], exec
	s_and_b64 s[8:9], vcc, exec
	v_mov_b32_e32 v22, 0
	s_or_b64 s[4:5], s[4:5], s[8:9]
	s_or_b64 exec, exec, s[6:7]
	s_and_saveexec_b64 s[6:7], s[4:5]
	s_cbranch_execnz .LBB4_2357
	s_branch .LBB4_2358
.LBB4_2615:
	s_movk_i32 s4, 0x80
	v_cmp_eq_u16_e32 vcc, s4, v24
	s_mov_b64 s[4:5], -1
                                        ; implicit-def: $sgpr10
	s_and_saveexec_b64 s[8:9], vcc
; %bb.2616:
	s_mov_b32 s10, 0x7f800001
	s_xor_b64 s[4:5], exec, -1
; %bb.2617:
	s_or_b64 exec, exec, s[8:9]
	s_and_b64 s[4:5], s[4:5], exec
                                        ; implicit-def: $vgpr24
	s_or_saveexec_b64 s[6:7], s[6:7]
	v_mov_b32_e32 v23, s10
	s_xor_b64 exec, exec, s[6:7]
	s_cbranch_execz .LBB4_2360
.LBB4_2618:
	v_cmp_ne_u16_e32 vcc, 0, v24
	s_andn2_b64 s[4:5], s[4:5], exec
	s_and_b64 s[8:9], vcc, exec
	v_mov_b32_e32 v23, 0
	s_or_b64 s[4:5], s[4:5], s[8:9]
	s_or_b64 exec, exec, s[6:7]
	s_and_saveexec_b64 s[6:7], s[4:5]
	s_cbranch_execnz .LBB4_2361
	s_branch .LBB4_2362
.LBB4_2619:
	s_movk_i32 s4, 0x80
	v_cmp_eq_u16_sdwa s[12:13], v0, s4 src0_sel:BYTE_0 src1_sel:DWORD
	s_mov_b64 s[4:5], -1
                                        ; implicit-def: $sgpr10
	s_and_saveexec_b64 s[8:9], s[12:13]
; %bb.2620:
	s_mov_b32 s10, 0x7f800001
	s_xor_b64 s[4:5], exec, -1
; %bb.2621:
	s_or_b64 exec, exec, s[8:9]
	s_and_b64 s[4:5], s[4:5], exec
	s_or_saveexec_b64 s[6:7], s[6:7]
	v_mov_b32_e32 v4, s10
	s_xor_b64 exec, exec, s[6:7]
	s_cbranch_execz .LBB4_2364
.LBB4_2622:
	v_mov_b32_e32 v4, 0
	v_cmp_ne_u16_sdwa s[8:9], v0, v4 src0_sel:BYTE_0 src1_sel:DWORD
	s_andn2_b64 s[4:5], s[4:5], exec
	s_and_b64 s[8:9], s[8:9], exec
	s_or_b64 s[4:5], s[4:5], s[8:9]
	s_or_b64 exec, exec, s[6:7]
	s_and_saveexec_b64 s[6:7], s[4:5]
	s_cbranch_execnz .LBB4_2365
	s_branch .LBB4_2366
.LBB4_2623:
	s_movk_i32 s4, 0x80
	v_cmp_eq_u16_sdwa s[12:13], v0, s4 src0_sel:BYTE_1 src1_sel:DWORD
	s_mov_b64 s[4:5], -1
                                        ; implicit-def: $sgpr10
	s_and_saveexec_b64 s[8:9], s[12:13]
; %bb.2624:
	s_mov_b32 s10, 0x7f800001
	s_xor_b64 s[4:5], exec, -1
; %bb.2625:
	s_or_b64 exec, exec, s[8:9]
	s_and_b64 s[4:5], s[4:5], exec
	s_or_saveexec_b64 s[6:7], s[6:7]
	v_mov_b32_e32 v5, s10
	s_xor_b64 exec, exec, s[6:7]
	s_cbranch_execz .LBB4_2368
.LBB4_2626:
	v_mov_b32_e32 v5, 0
	v_cmp_ne_u16_sdwa s[8:9], v0, v5 src0_sel:BYTE_1 src1_sel:DWORD
	s_andn2_b64 s[4:5], s[4:5], exec
	s_and_b64 s[8:9], s[8:9], exec
	s_or_b64 s[4:5], s[4:5], s[8:9]
	s_or_b64 exec, exec, s[6:7]
	s_and_saveexec_b64 s[6:7], s[4:5]
	s_cbranch_execnz .LBB4_2369
	s_branch .LBB4_2370
.LBB4_2627:
	s_movk_i32 s4, 0x80
	v_cmp_eq_u16_e32 vcc, s4, v7
	s_mov_b64 s[4:5], -1
                                        ; implicit-def: $sgpr10
	s_and_saveexec_b64 s[8:9], vcc
; %bb.2628:
	s_mov_b32 s10, 0x7f800001
	s_xor_b64 s[4:5], exec, -1
; %bb.2629:
	s_or_b64 exec, exec, s[8:9]
	s_and_b64 s[4:5], s[4:5], exec
                                        ; implicit-def: $vgpr7
	s_or_saveexec_b64 s[6:7], s[6:7]
	v_mov_b32_e32 v6, s10
	s_xor_b64 exec, exec, s[6:7]
	s_cbranch_execz .LBB4_2372
.LBB4_2630:
	v_cmp_ne_u16_e32 vcc, 0, v7
	s_andn2_b64 s[4:5], s[4:5], exec
	s_and_b64 s[8:9], vcc, exec
	v_mov_b32_e32 v6, 0
	s_or_b64 s[4:5], s[4:5], s[8:9]
	s_or_b64 exec, exec, s[6:7]
	s_and_saveexec_b64 s[6:7], s[4:5]
	s_cbranch_execnz .LBB4_2373
	s_branch .LBB4_2374
.LBB4_2631:
	s_movk_i32 s4, 0x80
	v_cmp_eq_u16_e32 vcc, s4, v8
	s_mov_b64 s[4:5], -1
                                        ; implicit-def: $sgpr10
	s_and_saveexec_b64 s[8:9], vcc
; %bb.2632:
	s_mov_b32 s10, 0x7f800001
	s_xor_b64 s[4:5], exec, -1
; %bb.2633:
	s_or_b64 exec, exec, s[8:9]
	s_and_b64 s[4:5], s[4:5], exec
                                        ; implicit-def: $vgpr8
	s_or_saveexec_b64 s[6:7], s[6:7]
	v_mov_b32_e32 v7, s10
	s_xor_b64 exec, exec, s[6:7]
	s_cbranch_execz .LBB4_2376
.LBB4_2634:
	v_cmp_ne_u16_e32 vcc, 0, v8
	s_andn2_b64 s[4:5], s[4:5], exec
	s_and_b64 s[8:9], vcc, exec
	v_mov_b32_e32 v7, 0
	s_or_b64 s[4:5], s[4:5], s[8:9]
	s_or_b64 exec, exec, s[6:7]
	s_and_saveexec_b64 s[6:7], s[4:5]
	s_cbranch_execnz .LBB4_2377
	s_branch .LBB4_2378
.LBB4_2635:
	s_movk_i32 s4, 0x80
	v_cmp_eq_u16_sdwa s[12:13], v1, s4 src0_sel:BYTE_0 src1_sel:DWORD
	s_mov_b64 s[4:5], -1
                                        ; implicit-def: $sgpr10
	s_and_saveexec_b64 s[8:9], s[12:13]
; %bb.2636:
	s_mov_b32 s10, 0x7f800001
	s_xor_b64 s[4:5], exec, -1
; %bb.2637:
	s_or_b64 exec, exec, s[8:9]
	s_and_b64 s[4:5], s[4:5], exec
	s_or_saveexec_b64 s[6:7], s[6:7]
	v_mov_b32_e32 v0, s10
	s_xor_b64 exec, exec, s[6:7]
	s_cbranch_execz .LBB4_2380
.LBB4_2638:
	v_mov_b32_e32 v0, 0
	v_cmp_ne_u16_sdwa s[8:9], v1, v0 src0_sel:BYTE_0 src1_sel:DWORD
	s_andn2_b64 s[4:5], s[4:5], exec
	s_and_b64 s[8:9], s[8:9], exec
	s_or_b64 s[4:5], s[4:5], s[8:9]
	s_or_b64 exec, exec, s[6:7]
	s_and_saveexec_b64 s[6:7], s[4:5]
	s_cbranch_execnz .LBB4_2381
	s_branch .LBB4_2382
.LBB4_2639:
	s_movk_i32 s4, 0x80
	v_cmp_eq_u16_sdwa s[12:13], v1, s4 src0_sel:BYTE_1 src1_sel:DWORD
	s_mov_b64 s[4:5], -1
                                        ; implicit-def: $sgpr10
	s_and_saveexec_b64 s[8:9], s[12:13]
; %bb.2640:
	s_mov_b32 s10, 0x7f800001
	s_xor_b64 s[4:5], exec, -1
; %bb.2641:
	s_or_b64 exec, exec, s[8:9]
	s_and_b64 s[4:5], s[4:5], exec
	s_or_saveexec_b64 s[6:7], s[6:7]
	v_mov_b32_e32 v8, s10
	s_xor_b64 exec, exec, s[6:7]
	s_cbranch_execz .LBB4_2384
.LBB4_2642:
	v_mov_b32_e32 v8, 0
	v_cmp_ne_u16_sdwa s[8:9], v1, v8 src0_sel:BYTE_1 src1_sel:DWORD
	s_andn2_b64 s[4:5], s[4:5], exec
	s_and_b64 s[8:9], s[8:9], exec
	s_or_b64 s[4:5], s[4:5], s[8:9]
	s_or_b64 exec, exec, s[6:7]
	s_and_saveexec_b64 s[6:7], s[4:5]
	s_cbranch_execnz .LBB4_2385
	s_branch .LBB4_2386
.LBB4_2643:
	s_movk_i32 s4, 0x80
	v_cmp_eq_u16_e32 vcc, s4, v10
	s_mov_b64 s[4:5], -1
                                        ; implicit-def: $sgpr10
	s_and_saveexec_b64 s[8:9], vcc
; %bb.2644:
	s_mov_b32 s10, 0x7f800001
	s_xor_b64 s[4:5], exec, -1
; %bb.2645:
	s_or_b64 exec, exec, s[8:9]
	s_and_b64 s[4:5], s[4:5], exec
                                        ; implicit-def: $vgpr10
	s_or_saveexec_b64 s[6:7], s[6:7]
	v_mov_b32_e32 v9, s10
	s_xor_b64 exec, exec, s[6:7]
	s_cbranch_execz .LBB4_2388
.LBB4_2646:
	v_cmp_ne_u16_e32 vcc, 0, v10
	s_andn2_b64 s[4:5], s[4:5], exec
	s_and_b64 s[8:9], vcc, exec
	v_mov_b32_e32 v9, 0
	s_or_b64 s[4:5], s[4:5], s[8:9]
	s_or_b64 exec, exec, s[6:7]
	s_and_saveexec_b64 s[6:7], s[4:5]
	s_cbranch_execnz .LBB4_2389
	s_branch .LBB4_2390
.LBB4_2647:
	s_movk_i32 s4, 0x80
	v_cmp_eq_u16_e32 vcc, s4, v11
	s_mov_b64 s[4:5], -1
                                        ; implicit-def: $sgpr10
	s_and_saveexec_b64 s[8:9], vcc
; %bb.2648:
	s_mov_b32 s10, 0x7f800001
	s_xor_b64 s[4:5], exec, -1
; %bb.2649:
	s_or_b64 exec, exec, s[8:9]
	s_and_b64 s[4:5], s[4:5], exec
                                        ; implicit-def: $vgpr11
	s_or_saveexec_b64 s[6:7], s[6:7]
	v_mov_b32_e32 v10, s10
	s_xor_b64 exec, exec, s[6:7]
	s_cbranch_execz .LBB4_2392
.LBB4_2650:
	v_cmp_ne_u16_e32 vcc, 0, v11
	s_andn2_b64 s[4:5], s[4:5], exec
	s_and_b64 s[8:9], vcc, exec
	v_mov_b32_e32 v10, 0
	s_or_b64 s[4:5], s[4:5], s[8:9]
	s_or_b64 exec, exec, s[6:7]
	s_and_saveexec_b64 s[6:7], s[4:5]
	s_cbranch_execnz .LBB4_2393
	s_branch .LBB4_2394
.LBB4_2651:
	s_movk_i32 s4, 0x80
	v_cmp_eq_u16_sdwa s[12:13], v2, s4 src0_sel:BYTE_0 src1_sel:DWORD
	s_mov_b64 s[4:5], -1
                                        ; implicit-def: $sgpr10
	s_and_saveexec_b64 s[8:9], s[12:13]
; %bb.2652:
	s_mov_b32 s10, 0x7f800001
	s_xor_b64 s[4:5], exec, -1
; %bb.2653:
	s_or_b64 exec, exec, s[8:9]
	s_and_b64 s[4:5], s[4:5], exec
	s_or_saveexec_b64 s[6:7], s[6:7]
	v_mov_b32_e32 v1, s10
	s_xor_b64 exec, exec, s[6:7]
	s_cbranch_execz .LBB4_2396
.LBB4_2654:
	v_mov_b32_e32 v1, 0
	v_cmp_ne_u16_sdwa s[8:9], v2, v1 src0_sel:BYTE_0 src1_sel:DWORD
	s_andn2_b64 s[4:5], s[4:5], exec
	s_and_b64 s[8:9], s[8:9], exec
	s_or_b64 s[4:5], s[4:5], s[8:9]
	s_or_b64 exec, exec, s[6:7]
	s_and_saveexec_b64 s[6:7], s[4:5]
	s_cbranch_execnz .LBB4_2397
	s_branch .LBB4_2398
.LBB4_2655:
	s_movk_i32 s4, 0x80
	v_cmp_eq_u16_sdwa s[12:13], v2, s4 src0_sel:BYTE_1 src1_sel:DWORD
	s_mov_b64 s[4:5], -1
                                        ; implicit-def: $sgpr10
	s_and_saveexec_b64 s[8:9], s[12:13]
; %bb.2656:
	s_mov_b32 s10, 0x7f800001
	s_xor_b64 s[4:5], exec, -1
; %bb.2657:
	s_or_b64 exec, exec, s[8:9]
	s_and_b64 s[4:5], s[4:5], exec
	s_or_saveexec_b64 s[6:7], s[6:7]
	v_mov_b32_e32 v11, s10
	s_xor_b64 exec, exec, s[6:7]
	s_cbranch_execz .LBB4_2400
.LBB4_2658:
	v_mov_b32_e32 v11, 0
	v_cmp_ne_u16_sdwa s[8:9], v2, v11 src0_sel:BYTE_1 src1_sel:DWORD
	s_andn2_b64 s[4:5], s[4:5], exec
	s_and_b64 s[8:9], s[8:9], exec
	s_or_b64 s[4:5], s[4:5], s[8:9]
	s_or_b64 exec, exec, s[6:7]
	s_and_saveexec_b64 s[6:7], s[4:5]
	s_cbranch_execnz .LBB4_2401
	s_branch .LBB4_2402
.LBB4_2659:
	s_movk_i32 s4, 0x80
	v_cmp_eq_u16_e32 vcc, s4, v13
	s_mov_b64 s[4:5], -1
                                        ; implicit-def: $sgpr10
	s_and_saveexec_b64 s[8:9], vcc
; %bb.2660:
	s_mov_b32 s10, 0x7f800001
	s_xor_b64 s[4:5], exec, -1
; %bb.2661:
	s_or_b64 exec, exec, s[8:9]
	s_and_b64 s[4:5], s[4:5], exec
                                        ; implicit-def: $vgpr13
	s_or_saveexec_b64 s[6:7], s[6:7]
	v_mov_b32_e32 v12, s10
	s_xor_b64 exec, exec, s[6:7]
	s_cbranch_execz .LBB4_2404
.LBB4_2662:
	v_cmp_ne_u16_e32 vcc, 0, v13
	s_andn2_b64 s[4:5], s[4:5], exec
	s_and_b64 s[8:9], vcc, exec
	v_mov_b32_e32 v12, 0
	s_or_b64 s[4:5], s[4:5], s[8:9]
	s_or_b64 exec, exec, s[6:7]
	s_and_saveexec_b64 s[6:7], s[4:5]
	s_cbranch_execnz .LBB4_2405
	s_branch .LBB4_2406
.LBB4_2663:
	s_movk_i32 s4, 0x80
	v_cmp_eq_u16_e32 vcc, s4, v14
	s_mov_b64 s[4:5], -1
                                        ; implicit-def: $sgpr10
	s_and_saveexec_b64 s[8:9], vcc
; %bb.2664:
	s_mov_b32 s10, 0x7f800001
	s_xor_b64 s[4:5], exec, -1
; %bb.2665:
	s_or_b64 exec, exec, s[8:9]
	s_and_b64 s[4:5], s[4:5], exec
                                        ; implicit-def: $vgpr14
	s_or_saveexec_b64 s[6:7], s[6:7]
	v_mov_b32_e32 v13, s10
	s_xor_b64 exec, exec, s[6:7]
	s_cbranch_execz .LBB4_2408
.LBB4_2666:
	v_cmp_ne_u16_e32 vcc, 0, v14
	s_andn2_b64 s[4:5], s[4:5], exec
	s_and_b64 s[8:9], vcc, exec
	v_mov_b32_e32 v13, 0
	s_or_b64 s[4:5], s[4:5], s[8:9]
	s_or_b64 exec, exec, s[6:7]
	s_and_saveexec_b64 s[6:7], s[4:5]
	s_cbranch_execnz .LBB4_2409
	s_branch .LBB4_2410
.LBB4_2667:
	s_movk_i32 s4, 0x80
	v_cmp_eq_u16_sdwa s[12:13], v3, s4 src0_sel:BYTE_0 src1_sel:DWORD
	s_mov_b64 s[4:5], -1
                                        ; implicit-def: $sgpr10
	s_and_saveexec_b64 s[8:9], s[12:13]
; %bb.2668:
	s_mov_b32 s10, 0x7f800001
	s_xor_b64 s[4:5], exec, -1
; %bb.2669:
	s_or_b64 exec, exec, s[8:9]
	s_and_b64 s[4:5], s[4:5], exec
	s_or_saveexec_b64 s[6:7], s[6:7]
	v_mov_b32_e32 v2, s10
	s_xor_b64 exec, exec, s[6:7]
	s_cbranch_execz .LBB4_2412
.LBB4_2670:
	v_mov_b32_e32 v2, 0
	v_cmp_ne_u16_sdwa s[8:9], v3, v2 src0_sel:BYTE_0 src1_sel:DWORD
	s_andn2_b64 s[4:5], s[4:5], exec
	s_and_b64 s[8:9], s[8:9], exec
	s_or_b64 s[4:5], s[4:5], s[8:9]
	s_or_b64 exec, exec, s[6:7]
	s_and_saveexec_b64 s[6:7], s[4:5]
	s_cbranch_execnz .LBB4_2413
	s_branch .LBB4_2414
.LBB4_2671:
	s_movk_i32 s4, 0x80
	v_cmp_eq_u16_sdwa s[12:13], v3, s4 src0_sel:BYTE_1 src1_sel:DWORD
	s_mov_b64 s[4:5], -1
                                        ; implicit-def: $sgpr10
	s_and_saveexec_b64 s[8:9], s[12:13]
; %bb.2672:
	s_mov_b32 s10, 0x7f800001
	s_xor_b64 s[4:5], exec, -1
; %bb.2673:
	s_or_b64 exec, exec, s[8:9]
	s_and_b64 s[4:5], s[4:5], exec
	s_or_saveexec_b64 s[6:7], s[6:7]
	v_mov_b32_e32 v14, s10
	s_xor_b64 exec, exec, s[6:7]
	s_cbranch_execz .LBB4_2416
.LBB4_2674:
	v_mov_b32_e32 v14, 0
	v_cmp_ne_u16_sdwa s[8:9], v3, v14 src0_sel:BYTE_1 src1_sel:DWORD
	s_andn2_b64 s[4:5], s[4:5], exec
	s_and_b64 s[8:9], s[8:9], exec
	s_or_b64 s[4:5], s[4:5], s[8:9]
	s_or_b64 exec, exec, s[6:7]
	s_and_saveexec_b64 s[6:7], s[4:5]
	s_cbranch_execnz .LBB4_2417
	s_branch .LBB4_2418
.LBB4_2675:
	s_movk_i32 s4, 0x80
	v_cmp_eq_u16_e32 vcc, s4, v16
	s_mov_b64 s[4:5], -1
                                        ; implicit-def: $sgpr10
	s_and_saveexec_b64 s[8:9], vcc
; %bb.2676:
	s_mov_b32 s10, 0x7f800001
	s_xor_b64 s[4:5], exec, -1
; %bb.2677:
	s_or_b64 exec, exec, s[8:9]
	s_and_b64 s[4:5], s[4:5], exec
                                        ; implicit-def: $vgpr16
	s_or_saveexec_b64 s[6:7], s[6:7]
	v_mov_b32_e32 v15, s10
	s_xor_b64 exec, exec, s[6:7]
	s_cbranch_execz .LBB4_2420
.LBB4_2678:
	v_cmp_ne_u16_e32 vcc, 0, v16
	s_andn2_b64 s[4:5], s[4:5], exec
	s_and_b64 s[8:9], vcc, exec
	v_mov_b32_e32 v15, 0
	s_or_b64 s[4:5], s[4:5], s[8:9]
	s_or_b64 exec, exec, s[6:7]
	s_and_saveexec_b64 s[6:7], s[4:5]
	s_cbranch_execnz .LBB4_2421
	s_branch .LBB4_2422
.LBB4_2679:
	s_movk_i32 s4, 0x80
	v_cmp_eq_u16_e32 vcc, s4, v17
	s_mov_b64 s[4:5], -1
                                        ; implicit-def: $sgpr10
	s_and_saveexec_b64 s[8:9], vcc
; %bb.2680:
	s_mov_b32 s10, 0x7f800001
	s_xor_b64 s[4:5], exec, -1
; %bb.2681:
	s_or_b64 exec, exec, s[8:9]
	s_and_b64 s[4:5], s[4:5], exec
                                        ; implicit-def: $vgpr17
	s_or_saveexec_b64 s[6:7], s[6:7]
	v_mov_b32_e32 v16, s10
	s_xor_b64 exec, exec, s[6:7]
	s_cbranch_execz .LBB4_2424
.LBB4_2682:
	v_cmp_ne_u16_e32 vcc, 0, v17
	s_andn2_b64 s[4:5], s[4:5], exec
	s_and_b64 s[8:9], vcc, exec
	v_mov_b32_e32 v16, 0
	s_or_b64 s[4:5], s[4:5], s[8:9]
	s_or_b64 exec, exec, s[6:7]
	s_and_saveexec_b64 s[6:7], s[4:5]
	s_cbranch_execnz .LBB4_2425
	s_branch .LBB4_2426
.Lfunc_end4:
	.size	_ZNK2ck31BlockwiseGemmXdlops_pipeline_v1ILNS_26BlockGemmPipelineSchedulerE1ELi64EDF16_NS_9f8_fnuz_tEDF16_fNS_16TensorDescriptorINS_5TupleIJNS_5EmbedINS4_IJNS_17integral_constantIiLi32EEES7_NS6_IiLi8EEEEEENS4_IJS8_NS6_IiLi256EEENS6_IiLi1EEEEEELb0EEENS_3XorINS4_IJS7_S7_EEELb1EEENS_11PassThroughIS8_EENS_7UnMergeINS4_IJS7_SB_EEELb0EEENSH_IS7_EESI_SM_NS_21Merge_v3_division_modISK_EESI_EEENS4_IJNS_8SequenceIJLi0EEEENSQ_IJLi2ELi1EEEENSQ_IJLi3EEEENSQ_IJLi5EEEENSQ_IJLi4EEEENSQ_IJLi6EEEENSQ_IJLi7EEEENSQ_IJLi9ELi8EEEENSQ_IJLi10EEEEEEENS4_IJNSQ_IJLi1ELi2ELi3EEEENSQ_IJLi4ELi5EEEESW_NSQ_IJLi7ELi8EEEENSQ_IJLi9EEEESZ_NSQ_IJLi11EEEENSQ_IJLi12EEEENSQ_IJLi13EEEEEEENSQ_IJLi11ELi12ELi13EEEENS6_IlLl8192EEEEENS3_INS4_IJNS5_INS4_IJNS6_IiLi16EEES7_S1C_EEENS4_IJS1C_SA_SB_EEELb0EEENSE_INS4_IJS7_S1C_EEELb1EEENSH_IS1C_EENSJ_INS4_IJS1C_SB_EEELb0EEESM_S1I_S1I_SO_S1I_EEES10_S18_S19_S1A_EENS3_INS4_IJSD_SG_SI_SL_SM_SI_SM_SO_SI_NSN_INS4_IJS7_S8_EEEEENSJ_INS4_IJNS6_IiLi2EEESB_S1C_EEELb0EEEEEENS4_IJSR_SS_ST_SU_SV_SW_SX_SY_SZ_NSQ_IJLi11ELi13EEEES16_EEENS4_IJS11_S12_SW_S13_S14_SZ_S15_S16_S17_NSQ_IJLi14EEEENSQ_IJLi15ELi16ELi17EEEEEEENSQ_IJLi15ELi16ELi17ELi14EEEES1A_EENS3_INS4_IJS1F_S1H_S1I_S1K_SM_S1I_S1I_SO_S1I_NSN_INS4_IJS1C_S1C_EEEEES1R_EEES1U_S1X_S1Y_S1A_EELi8ELi16ELi32ELi32ELi256ELi16ELi16ELi2ELi2ELi16ELb0EE3RunILb1ELNS_10TailNumberE10ENS3_INS4_IJNS5_INS4_IJiiEEENS4_IJiSB_EEELb0EEENSJ_IS27_Lb0EEENSH_IiEEEEENS4_IJSR_NSQ_IJLi2EEEENSQ_IJLi1EEEEEEENS4_IJNSQ_IJLi1ELi2EEEENSQ_IJLi3ELi4EEEESU_EEENSQ_IJLi3ELi5ELi4EEEElEES1B_NS_35ThreadGroupTensorSliceTransfer_v4r1INS_15ThisThreadBlockILi64EEENS_16tensor_operation12element_wise11PassThroughES2Q_LNS_25InMemoryDataOperationEnumE0ENSQ_IJLi32ELi32ELi8EEEENSQ_IJLi32ELi2ELi1EEEENSQ_IJLi1ELi0ELi2EEEEDF16_DF16_RKS2K_KS1B_S2U_NSQ_IJLi0ELi1ELi2EEEELi2ELi2ELi8ELi8ELi1ELi1ELb0ELb1ELi1EiEENS_13DynamicBufferILNS_16AddressSpaceEnumE1EKDF16_lLb1ELNS_22AmdBufferCoherenceEnumE0EiEENS30_ILS31_2EDF16_S1A_Lb1ELS33_0EiEENS4_IJiiiEEES2K_S1M_NS2L_IS2N_S2Q_S2Q_LS2R_0ENSQ_IJLi16ELi32ELi16EEEENSQ_IJLi16ELi4ELi1EEEES2U_S2_S2_S2W_KS1M_S2U_S2Y_Li2ELi2ELi16ELi16ELi1ELi1ELb0ELb1ELi1EiEENS30_ILS31_1EKS2_lLb1ELS33_0EiEENS30_ILS31_2ES2_S1A_Lb1ELS33_0EiEES36_NS_25StaticBufferTupleOfVectorILS31_4EfLi4ELi4ELb1ELb0EEEEEvRKT1_RKT2_RT3_RKT4_RT5_RKT6_RKT7_RKT8_RT9_RKT10_RT11_RKT12_RT13_i, .Lfunc_end4-_ZNK2ck31BlockwiseGemmXdlops_pipeline_v1ILNS_26BlockGemmPipelineSchedulerE1ELi64EDF16_NS_9f8_fnuz_tEDF16_fNS_16TensorDescriptorINS_5TupleIJNS_5EmbedINS4_IJNS_17integral_constantIiLi32EEES7_NS6_IiLi8EEEEEENS4_IJS8_NS6_IiLi256EEENS6_IiLi1EEEEEELb0EEENS_3XorINS4_IJS7_S7_EEELb1EEENS_11PassThroughIS8_EENS_7UnMergeINS4_IJS7_SB_EEELb0EEENSH_IS7_EESI_SM_NS_21Merge_v3_division_modISK_EESI_EEENS4_IJNS_8SequenceIJLi0EEEENSQ_IJLi2ELi1EEEENSQ_IJLi3EEEENSQ_IJLi5EEEENSQ_IJLi4EEEENSQ_IJLi6EEEENSQ_IJLi7EEEENSQ_IJLi9ELi8EEEENSQ_IJLi10EEEEEEENS4_IJNSQ_IJLi1ELi2ELi3EEEENSQ_IJLi4ELi5EEEESW_NSQ_IJLi7ELi8EEEENSQ_IJLi9EEEESZ_NSQ_IJLi11EEEENSQ_IJLi12EEEENSQ_IJLi13EEEEEEENSQ_IJLi11ELi12ELi13EEEENS6_IlLl8192EEEEENS3_INS4_IJNS5_INS4_IJNS6_IiLi16EEES7_S1C_EEENS4_IJS1C_SA_SB_EEELb0EEENSE_INS4_IJS7_S1C_EEELb1EEENSH_IS1C_EENSJ_INS4_IJS1C_SB_EEELb0EEESM_S1I_S1I_SO_S1I_EEES10_S18_S19_S1A_EENS3_INS4_IJSD_SG_SI_SL_SM_SI_SM_SO_SI_NSN_INS4_IJS7_S8_EEEEENSJ_INS4_IJNS6_IiLi2EEESB_S1C_EEELb0EEEEEENS4_IJSR_SS_ST_SU_SV_SW_SX_SY_SZ_NSQ_IJLi11ELi13EEEES16_EEENS4_IJS11_S12_SW_S13_S14_SZ_S15_S16_S17_NSQ_IJLi14EEEENSQ_IJLi15ELi16ELi17EEEEEEENSQ_IJLi15ELi16ELi17ELi14EEEES1A_EENS3_INS4_IJS1F_S1H_S1I_S1K_SM_S1I_S1I_SO_S1I_NSN_INS4_IJS1C_S1C_EEEEES1R_EEES1U_S1X_S1Y_S1A_EELi8ELi16ELi32ELi32ELi256ELi16ELi16ELi2ELi2ELi16ELb0EE3RunILb1ELNS_10TailNumberE10ENS3_INS4_IJNS5_INS4_IJiiEEENS4_IJiSB_EEELb0EEENSJ_IS27_Lb0EEENSH_IiEEEEENS4_IJSR_NSQ_IJLi2EEEENSQ_IJLi1EEEEEEENS4_IJNSQ_IJLi1ELi2EEEENSQ_IJLi3ELi4EEEESU_EEENSQ_IJLi3ELi5ELi4EEEElEES1B_NS_35ThreadGroupTensorSliceTransfer_v4r1INS_15ThisThreadBlockILi64EEENS_16tensor_operation12element_wise11PassThroughES2Q_LNS_25InMemoryDataOperationEnumE0ENSQ_IJLi32ELi32ELi8EEEENSQ_IJLi32ELi2ELi1EEEENSQ_IJLi1ELi0ELi2EEEEDF16_DF16_RKS2K_KS1B_S2U_NSQ_IJLi0ELi1ELi2EEEELi2ELi2ELi8ELi8ELi1ELi1ELb0ELb1ELi1EiEENS_13DynamicBufferILNS_16AddressSpaceEnumE1EKDF16_lLb1ELNS_22AmdBufferCoherenceEnumE0EiEENS30_ILS31_2EDF16_S1A_Lb1ELS33_0EiEENS4_IJiiiEEES2K_S1M_NS2L_IS2N_S2Q_S2Q_LS2R_0ENSQ_IJLi16ELi32ELi16EEEENSQ_IJLi16ELi4ELi1EEEES2U_S2_S2_S2W_KS1M_S2U_S2Y_Li2ELi2ELi16ELi16ELi1ELi1ELb0ELb1ELi1EiEENS30_ILS31_1EKS2_lLb1ELS33_0EiEENS30_ILS31_2ES2_S1A_Lb1ELS33_0EiEES36_NS_25StaticBufferTupleOfVectorILS31_4EfLi4ELi4ELb1ELb0EEEEEvRKT1_RKT2_RT3_RKT4_RT5_RKT6_RKT7_RKT8_RT9_RKT10_RT11_RKT12_RT13_i
                                        ; -- End function
	.section	.AMDGPU.csdata,"",@progbits
; Function info:
; codeLenInByte = 98204
; NumSgprs: 38
; NumVgprs: 128
; NumAgprs: 36
; TotalNumVgprs: 164
; ScratchSize: 272
; MemoryBound: 0
	.section	.text._ZN2ck27kernel_gemm_xdl_cshuffle_v3INS_28GridwiseGemm_xdl_cshuffle_v3INS_13tensor_layout4gemm8RowMajorENS3_11ColumnMajorES4_DF16_NS_9f8_fnuz_tEfDF16_DF16_NS_16tensor_operation12element_wise11PassThroughES9_S9_LNS7_6device18GemmSpecializationE0ELi64ELi32ELi32ELi256ELi8ELi16ELi16ELi16ELi2ELi2ENS_8SequenceIJLi32ELi2ELi1EEEENSC_IJLi1ELi0ELi2EEEESE_Li2ELi8ELi8ELb0ELi0ENSC_IJLi16ELi4ELi1EEEESE_SE_Li2ELi16ELi16ELb0ELi0ELi1ELi1ENSC_IJLi1ELi16ELi1ELi4EEEELi4ELNS_26BlockGemmPipelineSchedulerE1ELNS_24BlockGemmPipelineVersionE0EDF16_DF16_Lb0ELb0ELb0ELi0ELb0EEELb1ELNS_25InMemoryDataOperationEnumE1ELi2ELNS_10TailNumberE10EEEvNT_8ArgumentE,"axG",@progbits,_ZN2ck27kernel_gemm_xdl_cshuffle_v3INS_28GridwiseGemm_xdl_cshuffle_v3INS_13tensor_layout4gemm8RowMajorENS3_11ColumnMajorES4_DF16_NS_9f8_fnuz_tEfDF16_DF16_NS_16tensor_operation12element_wise11PassThroughES9_S9_LNS7_6device18GemmSpecializationE0ELi64ELi32ELi32ELi256ELi8ELi16ELi16ELi16ELi2ELi2ENS_8SequenceIJLi32ELi2ELi1EEEENSC_IJLi1ELi0ELi2EEEESE_Li2ELi8ELi8ELb0ELi0ENSC_IJLi16ELi4ELi1EEEESE_SE_Li2ELi16ELi16ELb0ELi0ELi1ELi1ENSC_IJLi1ELi16ELi1ELi4EEEELi4ELNS_26BlockGemmPipelineSchedulerE1ELNS_24BlockGemmPipelineVersionE0EDF16_DF16_Lb0ELb0ELb0ELi0ELb0EEELb1ELNS_25InMemoryDataOperationEnumE1ELi2ELNS_10TailNumberE10EEEvNT_8ArgumentE,comdat
	.protected	_ZN2ck27kernel_gemm_xdl_cshuffle_v3INS_28GridwiseGemm_xdl_cshuffle_v3INS_13tensor_layout4gemm8RowMajorENS3_11ColumnMajorES4_DF16_NS_9f8_fnuz_tEfDF16_DF16_NS_16tensor_operation12element_wise11PassThroughES9_S9_LNS7_6device18GemmSpecializationE0ELi64ELi32ELi32ELi256ELi8ELi16ELi16ELi16ELi2ELi2ENS_8SequenceIJLi32ELi2ELi1EEEENSC_IJLi1ELi0ELi2EEEESE_Li2ELi8ELi8ELb0ELi0ENSC_IJLi16ELi4ELi1EEEESE_SE_Li2ELi16ELi16ELb0ELi0ELi1ELi1ENSC_IJLi1ELi16ELi1ELi4EEEELi4ELNS_26BlockGemmPipelineSchedulerE1ELNS_24BlockGemmPipelineVersionE0EDF16_DF16_Lb0ELb0ELb0ELi0ELb0EEELb1ELNS_25InMemoryDataOperationEnumE1ELi2ELNS_10TailNumberE10EEEvNT_8ArgumentE ; -- Begin function _ZN2ck27kernel_gemm_xdl_cshuffle_v3INS_28GridwiseGemm_xdl_cshuffle_v3INS_13tensor_layout4gemm8RowMajorENS3_11ColumnMajorES4_DF16_NS_9f8_fnuz_tEfDF16_DF16_NS_16tensor_operation12element_wise11PassThroughES9_S9_LNS7_6device18GemmSpecializationE0ELi64ELi32ELi32ELi256ELi8ELi16ELi16ELi16ELi2ELi2ENS_8SequenceIJLi32ELi2ELi1EEEENSC_IJLi1ELi0ELi2EEEESE_Li2ELi8ELi8ELb0ELi0ENSC_IJLi16ELi4ELi1EEEESE_SE_Li2ELi16ELi16ELb0ELi0ELi1ELi1ENSC_IJLi1ELi16ELi1ELi4EEEELi4ELNS_26BlockGemmPipelineSchedulerE1ELNS_24BlockGemmPipelineVersionE0EDF16_DF16_Lb0ELb0ELb0ELi0ELb0EEELb1ELNS_25InMemoryDataOperationEnumE1ELi2ELNS_10TailNumberE10EEEvNT_8ArgumentE
	.globl	_ZN2ck27kernel_gemm_xdl_cshuffle_v3INS_28GridwiseGemm_xdl_cshuffle_v3INS_13tensor_layout4gemm8RowMajorENS3_11ColumnMajorES4_DF16_NS_9f8_fnuz_tEfDF16_DF16_NS_16tensor_operation12element_wise11PassThroughES9_S9_LNS7_6device18GemmSpecializationE0ELi64ELi32ELi32ELi256ELi8ELi16ELi16ELi16ELi2ELi2ENS_8SequenceIJLi32ELi2ELi1EEEENSC_IJLi1ELi0ELi2EEEESE_Li2ELi8ELi8ELb0ELi0ENSC_IJLi16ELi4ELi1EEEESE_SE_Li2ELi16ELi16ELb0ELi0ELi1ELi1ENSC_IJLi1ELi16ELi1ELi4EEEELi4ELNS_26BlockGemmPipelineSchedulerE1ELNS_24BlockGemmPipelineVersionE0EDF16_DF16_Lb0ELb0ELb0ELi0ELb0EEELb1ELNS_25InMemoryDataOperationEnumE1ELi2ELNS_10TailNumberE10EEEvNT_8ArgumentE
	.p2align	8
	.type	_ZN2ck27kernel_gemm_xdl_cshuffle_v3INS_28GridwiseGemm_xdl_cshuffle_v3INS_13tensor_layout4gemm8RowMajorENS3_11ColumnMajorES4_DF16_NS_9f8_fnuz_tEfDF16_DF16_NS_16tensor_operation12element_wise11PassThroughES9_S9_LNS7_6device18GemmSpecializationE0ELi64ELi32ELi32ELi256ELi8ELi16ELi16ELi16ELi2ELi2ENS_8SequenceIJLi32ELi2ELi1EEEENSC_IJLi1ELi0ELi2EEEESE_Li2ELi8ELi8ELb0ELi0ENSC_IJLi16ELi4ELi1EEEESE_SE_Li2ELi16ELi16ELb0ELi0ELi1ELi1ENSC_IJLi1ELi16ELi1ELi4EEEELi4ELNS_26BlockGemmPipelineSchedulerE1ELNS_24BlockGemmPipelineVersionE0EDF16_DF16_Lb0ELb0ELb0ELi0ELb0EEELb1ELNS_25InMemoryDataOperationEnumE1ELi2ELNS_10TailNumberE10EEEvNT_8ArgumentE,@function
_ZN2ck27kernel_gemm_xdl_cshuffle_v3INS_28GridwiseGemm_xdl_cshuffle_v3INS_13tensor_layout4gemm8RowMajorENS3_11ColumnMajorES4_DF16_NS_9f8_fnuz_tEfDF16_DF16_NS_16tensor_operation12element_wise11PassThroughES9_S9_LNS7_6device18GemmSpecializationE0ELi64ELi32ELi32ELi256ELi8ELi16ELi16ELi16ELi2ELi2ENS_8SequenceIJLi32ELi2ELi1EEEENSC_IJLi1ELi0ELi2EEEESE_Li2ELi8ELi8ELb0ELi0ENSC_IJLi16ELi4ELi1EEEESE_SE_Li2ELi16ELi16ELb0ELi0ELi1ELi1ENSC_IJLi1ELi16ELi1ELi4EEEELi4ELNS_26BlockGemmPipelineSchedulerE1ELNS_24BlockGemmPipelineVersionE0EDF16_DF16_Lb0ELb0ELb0ELi0ELb0EEELb1ELNS_25InMemoryDataOperationEnumE1ELi2ELNS_10TailNumberE10EEEvNT_8ArgumentE: ; @_ZN2ck27kernel_gemm_xdl_cshuffle_v3INS_28GridwiseGemm_xdl_cshuffle_v3INS_13tensor_layout4gemm8RowMajorENS3_11ColumnMajorES4_DF16_NS_9f8_fnuz_tEfDF16_DF16_NS_16tensor_operation12element_wise11PassThroughES9_S9_LNS7_6device18GemmSpecializationE0ELi64ELi32ELi32ELi256ELi8ELi16ELi16ELi16ELi2ELi2ENS_8SequenceIJLi32ELi2ELi1EEEENSC_IJLi1ELi0ELi2EEEESE_Li2ELi8ELi8ELb0ELi0ENSC_IJLi16ELi4ELi1EEEESE_SE_Li2ELi16ELi16ELb0ELi0ELi1ELi1ENSC_IJLi1ELi16ELi1ELi4EEEELi4ELNS_26BlockGemmPipelineSchedulerE1ELNS_24BlockGemmPipelineVersionE0EDF16_DF16_Lb0ELb0ELb0ELi0ELb0EEELb1ELNS_25InMemoryDataOperationEnumE1ELi2ELNS_10TailNumberE10EEEvNT_8ArgumentE
; %bb.0:
	s_add_u32 flat_scratch_lo, s6, s10
	s_addc_u32 flat_scratch_hi, s7, 0
	s_add_u32 s0, s0, s10
	s_load_dwordx8 s[36:43], s[4:5], 0x10
	s_load_dword s16, s[4:5], 0x34
	s_load_dwordx2 s[10:11], s[4:5], 0x3c
	s_load_dword s17, s[4:5], 0x68
	s_load_dwordx2 s[6:7], s[4:5], 0x60
	s_load_dwordx4 s[12:15], s[4:5], 0x50
	s_addc_u32 s1, s1, 0
	s_waitcnt lgkmcnt(0)
	s_cmp_gt_i32 s42, 1
	s_cselect_b64 s[4:5], -1, 0
	s_bitcmp1_b32 s17, 0
	s_cselect_b64 s[18:19], -1, 0
	s_and_b64 s[4:5], s[4:5], s[18:19]
	v_mov_b32_e32 v128, v0
	s_andn2_b64 vcc, exec, s[4:5]
	s_mov_b64 s[4:5], 0
	s_mov_b32 s32, 0x1e800
	s_cbranch_vccnz .LBB5_2
; %bb.1:
	s_mul_i32 s4, s36, s9
	s_mul_i32 s4, s4, s37
	s_ashr_i32 s5, s4, 31
.LBB5_2:
	s_add_i32 s17, s42, -1
	s_mul_i32 s19, s17, s16
	s_sub_i32 s19, s38, s19
	s_mul_i32 s18, s16, s9
	s_cmp_lt_u32 s9, s17
	s_cselect_b32 s20, s16, s19
	s_ashr_i32 s19, s18, 31
	s_lshl_b64 s[16:17], s[18:19], 1
	s_add_u32 s16, s12, s16
	s_addc_u32 s17, s13, s17
	s_add_u32 s14, s14, s18
	s_addc_u32 s15, s15, s19
	s_add_u32 s12, 0, 0
	s_addc_u32 s13, s36, -1
	s_mul_i32 s18, s13, s39
	s_ashr_i32 s19, s18, 31
	s_ashr_i32 s21, s20, 31
	s_add_u32 s18, s18, s20
	s_mul_i32 s22, s36, s10
	s_addc_u32 s19, s19, s21
	s_lshl_b32 s22, s22, 3
	v_mov_b32_e32 v0, s39
	v_mov_b32_e32 v3, s10
	;; [unrolled: 1-line block ×4, first 2 shown]
	buffer_store_dword v0, off, s[0:3], 0 offset:1848
	v_mov_b32_e32 v0, 0
	buffer_store_dword v3, off, s[0:3], 0 offset:1856
	v_mov_b32_e32 v3, 8
	s_add_u32 s10, 0, 0
	buffer_store_dword v1, off, s[0:3], 0 offset:1840
	buffer_store_dword v2, off, s[0:3], 0 offset:1844
	;; [unrolled: 1-line block ×6, first 2 shown]
	v_mov_b32_e32 v1, s22
	s_addc_u32 s10, s37, -1
	buffer_store_dword v1, off, s[0:3], 0 offset:1876
	v_mov_b32_e32 v1, s19
	v_mov_b32_e32 v3, s18
	s_mul_i32 s10, s10, s40
	v_mov_b32_e32 v4, s37
	buffer_store_dword v1, off, s[0:3], 0 offset:1884
	buffer_store_dword v3, off, s[0:3], 0 offset:1880
	s_ashr_i32 s18, s10, 31
	buffer_store_dword v4, off, s[0:3], 0 offset:1888
	buffer_store_dword v2, off, s[0:3], 0 offset:1892
	v_mov_b32_e32 v2, s40
	s_add_u32 s10, s10, s20
	s_mul_i32 s19, s37, s11
	buffer_store_dword v2, off, s[0:3], 0 offset:1896
	buffer_store_dword v0, off, s[0:3], 0 offset:1900
	v_mov_b32_e32 v2, s11
	s_addc_u32 s18, s18, s21
	s_lshl_b32 s19, s19, 4
	buffer_store_dword v2, off, s[0:3], 0 offset:1904
	v_mov_b32_e32 v2, 16
	buffer_store_dword v2, off, s[0:3], 0 offset:1912
	buffer_store_dword v2, off, s[0:3], 0 offset:1908
	;; [unrolled: 1-line block ×3, first 2 shown]
	v_mov_b32_e32 v2, s19
	v_mov_b32_e32 v5, s17
	buffer_store_dword v2, off, s[0:3], 0 offset:1924
	v_mov_b32_e32 v2, s18
	v_mov_b32_e32 v4, s10
	buffer_store_dword v5, off, s[0:3], 0 offset:4
	v_mov_b32_e32 v5, s16
	buffer_store_dword v2, off, s[0:3], 0 offset:1932
	buffer_store_dword v4, off, s[0:3], 0 offset:1928
	buffer_store_dword v5, off, s[0:3], 0
	buffer_store_dword v1, off, s[0:3], 0 offset:12
	buffer_store_dword v3, off, s[0:3], 0 offset:8
	v_mov_b32_e32 v1, s15
	s_add_i32 s11, s36, -1
	s_mov_b32 s9, 0
	s_mov_b32 s10, 0
	buffer_store_dword v1, off, s[0:3], 0 offset:28
	v_mov_b32_e32 v1, s14
	s_cmp_lt_u32 s11, 32
	buffer_store_short v0, off, s[0:3], 0 offset:16
	buffer_store_dword v1, off, s[0:3], 0 offset:24
	buffer_store_dword v2, off, s[0:3], 0 offset:36
	;; [unrolled: 1-line block ×3, first 2 shown]
	buffer_store_byte v0, off, s[0:3], 0 offset:40
	s_cbranch_scc1 .LBB5_10
; %bb.3:
	s_add_i32 s9, s37, -1
	s_cmp_lt_u32 s9, 32
	s_cbranch_scc1 .LBB5_9
; %bb.4:
	s_add_i32 s9, s36, 31
	s_ashr_i32 s10, s9, 31
	s_lshr_b32 s10, s10, 27
	s_add_i32 s9, s9, s10
	s_ashr_i32 s11, s9, 5
	s_add_i32 s9, s37, 31
	s_ashr_i32 s10, s9, 31
	s_lshr_b32 s10, s10, 27
	s_add_i32 s9, s9, s10
	s_ashr_i32 s10, s9, 5
	s_mul_i32 s9, s10, s11
	s_add_i32 s14, s9, 7
	s_ashr_i32 s15, s14, 31
	s_lshr_b32 s15, s15, 29
	s_add_i32 s15, s14, s15
	s_ashr_i32 s14, s15, 3
	s_and_b32 s15, s15, -8
	s_sub_i32 s15, s9, s15
	s_ashr_i32 s9, s8, 31
	s_lshr_b32 s9, s9, 29
	s_add_i32 s18, s8, s9
	s_and_b32 s9, s18, -8
	s_add_i32 s15, s15, 8
	s_sub_i32 s17, s8, s9
	s_cmp_gt_i32 s17, s15
	s_cbranch_scc1 .LBB5_6
; %bb.5:
	s_mul_i32 s16, s14, s17
	s_ashr_i32 s8, s18, 3
	s_cbranch_execz .LBB5_7
	s_branch .LBB5_8
.LBB5_6:
                                        ; implicit-def: $sgpr16
	s_ashr_i32 s8, s18, 3
.LBB5_7:
	s_add_i32 s9, s14, -1
	s_mul_i32 s9, s9, s17
	s_add_i32 s16, s15, s9
.LBB5_8:
	s_abs_i32 s9, s10
	v_cvt_f32_u32_e32 v1, s9
	s_add_i32 s8, s16, s8
	s_sub_i32 s16, 0, s9
	s_abs_i32 s15, s8
	v_rcp_iflag_f32_e32 v1, v1
	s_xor_b32 s14, s8, s10
	s_ashr_i32 s14, s14, 31
	v_mul_f32_e32 v1, 0x4f7ffffe, v1
	v_cvt_u32_f32_e32 v1, v1
	v_readfirstlane_b32 s17, v1
	s_mul_i32 s16, s16, s17
	s_mul_hi_u32 s16, s17, s16
	s_add_i32 s17, s17, s16
	s_mul_hi_u32 s16, s15, s17
	s_mul_i32 s17, s16, s9
	s_sub_i32 s15, s15, s17
	s_add_i32 s18, s16, 1
	s_sub_i32 s17, s15, s9
	s_cmp_ge_u32 s15, s9
	s_cselect_b32 s16, s18, s16
	s_cselect_b32 s15, s17, s15
	s_add_i32 s17, s16, 1
	s_cmp_ge_u32 s15, s9
	s_cselect_b32 s9, s17, s16
	s_xor_b32 s9, s9, s14
	s_lshr_b32 s15, s11, 30
	s_sub_i32 s9, s9, s14
	s_add_i32 s15, s11, s15
	s_mul_i32 s14, s9, s10
	s_sub_i32 s8, s8, s14
	s_and_b32 s14, s15, -4
	s_sub_i32 s11, s11, s14
	s_cmp_ge_i32 s9, s14
	s_cselect_b32 s11, s11, 4
	s_abs_i32 s15, s11
	v_cvt_f32_u32_e32 v1, s15
	s_ashr_i32 s14, s9, 31
	s_lshr_b32 s14, s14, 30
	s_add_i32 s14, s9, s14
	v_rcp_iflag_f32_e32 v1, v1
	s_and_b32 s14, s14, -4
	s_sub_i32 s14, s9, s14
	s_sub_i32 s17, 0, s15
	v_mul_f32_e32 v1, 0x4f7ffffe, v1
	v_cvt_u32_f32_e32 v1, v1
	s_mul_i32 s10, s14, s10
	s_add_i32 s8, s10, s8
	s_abs_i32 s16, s8
	v_readfirstlane_b32 s18, v1
	s_mul_i32 s17, s17, s18
	s_mul_hi_u32 s17, s18, s17
	s_add_i32 s18, s18, s17
	s_mul_hi_u32 s17, s16, s18
	s_mul_i32 s18, s17, s15
	s_xor_b32 s10, s8, s11
	s_sub_i32 s16, s16, s18
	s_ashr_i32 s10, s10, 31
	s_add_i32 s18, s17, 1
	s_sub_i32 s19, s16, s15
	s_cmp_ge_u32 s16, s15
	s_cselect_b32 s17, s18, s17
	s_cselect_b32 s16, s19, s16
	s_add_i32 s18, s17, 1
	s_cmp_ge_u32 s16, s15
	s_cselect_b32 s15, s18, s17
	s_xor_b32 s15, s15, s10
	s_sub_i32 s10, s15, s10
	s_mul_i32 s11, s10, s11
	s_sub_i32 s8, s8, s11
	s_add_i32 s8, s8, s9
	s_sub_i32 s8, s8, s14
.LBB5_9:
	s_mov_b32 s9, s8
	s_mov_b32 s8, s10
.LBB5_10:
	s_lshl_b64 s[4:5], s[4:5], 1
	s_add_u32 s44, s6, s4
	v_lshrrev_b32_e32 v1, 1, v128
	s_addc_u32 s45, s7, s5
	s_lshl_b32 s29, s9, 5
	v_and_b32_e32 v3, 16, v1
	v_and_b32_e32 v6, 31, v128
	v_add_u32_e32 v7, s29, v3
	v_lshlrev_b32_e32 v2, 3, v6
	v_mad_u64_u32 v[4:5], s[6:7], v7, s39, v[2:3]
	buffer_store_dword v0, off, s[0:3], 0 offset:300
	buffer_store_dword v0, off, s[0:3], 0 offset:296
	;; [unrolled: 1-line block ×64, first 2 shown]
	buffer_store_short v0, off, s[0:3], 0 offset:304
	buffer_store_dword v0, off, s[0:3], 0 offset:444
	buffer_store_dword v0, off, s[0:3], 0 offset:440
	;; [unrolled: 1-line block ×32, first 2 shown]
	buffer_store_byte v0, off, s[0:3], 0 offset:448
	buffer_store_dword v0, off, s[0:3], 0 offset:476
	buffer_store_dword v0, off, s[0:3], 0 offset:472
	;; [unrolled: 1-line block ×64, first 2 shown]
	buffer_store_short v0, off, s[0:3], 0 offset:720
	buffer_store_dword v0, off, s[0:3], 0 offset:752
	buffer_store_dword v0, off, s[0:3], 0 offset:772
	;; [unrolled: 1-line block ×7, first 2 shown]
	v_xor_b32_e32 v2, v3, v6
	v_lshlrev_b32_e32 v4, 8, v3
	v_lshl_or_b32 v4, v2, 3, v4
	s_lshl_b32 s34, s8, 5
	buffer_store_dword v4, off, s[0:3], 0 offset:760
	buffer_store_dword v2, off, s[0:3], 0 offset:764
	;; [unrolled: 1-line block ×45, first 2 shown]
	buffer_store_short v0, off, s[0:3], 0 offset:960
	buffer_store_dword v0, off, s[0:3], 0 offset:988
	buffer_store_dword v0, off, s[0:3], 0 offset:984
	;; [unrolled: 1-line block ×32, first 2 shown]
	buffer_store_byte v0, off, s[0:3], 0 offset:1104
	buffer_store_dword v0, off, s[0:3], 0 offset:1244
	buffer_store_dword v0, off, s[0:3], 0 offset:1240
	;; [unrolled: 1-line block ×32, first 2 shown]
	buffer_store_short v0, off, s[0:3], 0 offset:1248
	buffer_store_dword v0, off, s[0:3], 0 offset:1280
	v_and_b32_e32 v129, 15, v128
	v_and_b32_e32 v3, 24, v1
	v_lshlrev_b32_e32 v2, 4, v129
	v_add_u32_e32 v6, s34, v3
	v_and_b32_e32 v1, 8, v1
	v_mad_u64_u32 v[4:5], s[6:7], v6, s40, v[2:3]
	s_mul_i32 s13, s13, s41
	s_mul_hi_u32 s35, s12, s41
	buffer_store_dword v0, off, s[0:3], 0 offset:1300
	buffer_store_dword v4, off, s[0:3], 0 offset:1264
	;; [unrolled: 1-line block ×5, first 2 shown]
	v_xor_b32_e32 v1, v1, v129
	v_lshlrev_b32_e32 v2, 8, v3
	s_add_i32 s35, s35, s13
	v_lshl_or_b32 v2, v1, 4, v2
	s_mov_b64 s[6:7], src_shared_base
	buffer_store_dword v6, off, s[0:3], 0 offset:1284
	buffer_store_dword v2, off, s[0:3], 0 offset:1288
	;; [unrolled: 1-line block ×14, first 2 shown]
	v_mov_b32_e32 v1, s7
	s_getpc_b64 s[6:7]
	s_add_u32 s6, s6, __const._ZN2ck28GridwiseGemm_xdl_cshuffle_v3INS_13tensor_layout4gemm8RowMajorENS2_11ColumnMajorES3_DF16_NS_9f8_fnuz_tEfDF16_DF16_NS_16tensor_operation12element_wise11PassThroughES8_S8_LNS6_6device18GemmSpecializationE0ELi64ELi32ELi32ELi256ELi8ELi16ELi16ELi16ELi2ELi2ENS_8SequenceIJLi32ELi2ELi1EEEENSB_IJLi1ELi0ELi2EEEESD_Li2ELi8ELi8ELb0ELi0ENSB_IJLi16ELi4ELi1EEEESD_SD_Li2ELi16ELi16ELb0ELi0ELi1ELi1ENSB_IJLi1ELi16ELi1ELi4EEEELi4ELNS_26BlockGemmPipelineSchedulerE1ELNS_24BlockGemmPipelineVersionE0EDF16_DF16_Lb0ELb0ELb0ELi0ELb0EE3RunIKNS_16TensorDescriptorINS_5TupleIJNS_5EmbedINSL_IJiiEEENSL_IJiNS_17integral_constantIiLi1EEEEEELb0EEENS_7UnMergeISN_Lb0EEENS_11PassThroughIiEEEEENSL_IJNSB_IJLi0EEEENSB_IJLi2EEEENSB_IJLi1EEEEEEENSL_IJNSB_IJLi1ELi2EEEENSB_IJLi3ELi4EEEENSB_IJLi5EEEEEEENSB_IJLi3ELi5ELi4EEEElEES17_KNSK_INSL_IJSR_NS_8RightPadIiiLb0EEES19_NSS_INSL_IJiNSO_IiLi32EEEEEELb0EEES1C_EEENSL_IJSX_SZ_SY_NSB_IJLi3EEEENSB_IJLi4EEEEEEENSL_IJS11_S1E_S1F_NSB_IJLi5ELi6EEEENSB_IJLi7ELi8EEEEEEENSB_IJLi5ELi6ELi7ELi8EEEElEELb1ELNS_25InMemoryDataOperationEnumE1ELNS_10TailNumberE10EEEvPKDF16_PKS5_PDF16_PvRKNSI_7ProblemERKT_RKT0_RKT1_.a_block_slice_copy_step@rel32@lo+4
	s_addc_u32 s7, s7, __const._ZN2ck28GridwiseGemm_xdl_cshuffle_v3INS_13tensor_layout4gemm8RowMajorENS2_11ColumnMajorES3_DF16_NS_9f8_fnuz_tEfDF16_DF16_NS_16tensor_operation12element_wise11PassThroughES8_S8_LNS6_6device18GemmSpecializationE0ELi64ELi32ELi32ELi256ELi8ELi16ELi16ELi16ELi2ELi2ENS_8SequenceIJLi32ELi2ELi1EEEENSB_IJLi1ELi0ELi2EEEESD_Li2ELi8ELi8ELb0ELi0ENSB_IJLi16ELi4ELi1EEEESD_SD_Li2ELi16ELi16ELb0ELi0ELi1ELi1ENSB_IJLi1ELi16ELi1ELi4EEEELi4ELNS_26BlockGemmPipelineSchedulerE1ELNS_24BlockGemmPipelineVersionE0EDF16_DF16_Lb0ELb0ELb0ELi0ELb0EE3RunIKNS_16TensorDescriptorINS_5TupleIJNS_5EmbedINSL_IJiiEEENSL_IJiNS_17integral_constantIiLi1EEEEEELb0EEENS_7UnMergeISN_Lb0EEENS_11PassThroughIiEEEEENSL_IJNSB_IJLi0EEEENSB_IJLi2EEEENSB_IJLi1EEEEEEENSL_IJNSB_IJLi1ELi2EEEENSB_IJLi3ELi4EEEENSB_IJLi5EEEEEEENSB_IJLi3ELi5ELi4EEEElEES17_KNSK_INSL_IJSR_NS_8RightPadIiiLb0EEES19_NSS_INSL_IJiNSO_IiLi32EEEEEELb0EEES1C_EEENSL_IJSX_SZ_SY_NSB_IJLi3EEEENSB_IJLi4EEEEEEENSL_IJS11_S1E_S1F_NSB_IJLi5ELi6EEEENSB_IJLi7ELi8EEEEEEENSB_IJLi5ELi6ELi7ELi8EEEElEELb1ELNS_25InMemoryDataOperationEnumE1ELNS_10TailNumberE10EEEvPKDF16_PKS5_PDF16_PvRKNSI_7ProblemERKT_RKT0_RKT1_.a_block_slice_copy_step@rel32@hi+12
	s_load_dwordx2 s[6:7], s[6:7], 0x0
	s_getpc_b64 s[8:9]
	s_add_u32 s8, s8, __const._ZN2ck28GridwiseGemm_xdl_cshuffle_v3INS_13tensor_layout4gemm8RowMajorENS2_11ColumnMajorES3_DF16_NS_9f8_fnuz_tEfDF16_DF16_NS_16tensor_operation12element_wise11PassThroughES8_S8_LNS6_6device18GemmSpecializationE0ELi64ELi32ELi32ELi256ELi8ELi16ELi16ELi16ELi2ELi2ENS_8SequenceIJLi32ELi2ELi1EEEENSB_IJLi1ELi0ELi2EEEESD_Li2ELi8ELi8ELb0ELi0ENSB_IJLi16ELi4ELi1EEEESD_SD_Li2ELi16ELi16ELb0ELi0ELi1ELi1ENSB_IJLi1ELi16ELi1ELi4EEEELi4ELNS_26BlockGemmPipelineSchedulerE1ELNS_24BlockGemmPipelineVersionE0EDF16_DF16_Lb0ELb0ELb0ELi0ELb0EE3RunIKNS_16TensorDescriptorINS_5TupleIJNS_5EmbedINSL_IJiiEEENSL_IJiNS_17integral_constantIiLi1EEEEEELb0EEENS_7UnMergeISN_Lb0EEENS_11PassThroughIiEEEEENSL_IJNSB_IJLi0EEEENSB_IJLi2EEEENSB_IJLi1EEEEEEENSL_IJNSB_IJLi1ELi2EEEENSB_IJLi3ELi4EEEENSB_IJLi5EEEEEEENSB_IJLi3ELi5ELi4EEEElEES17_KNSK_INSL_IJSR_NS_8RightPadIiiLb0EEES19_NSS_INSL_IJiNSO_IiLi32EEEEEELb0EEES1C_EEENSL_IJSX_SZ_SY_NSB_IJLi3EEEENSB_IJLi4EEEEEEENSL_IJS11_S1E_S1F_NSB_IJLi5ELi6EEEENSB_IJLi7ELi8EEEEEEENSB_IJLi5ELi6ELi7ELi8EEEElEELb1ELNS_25InMemoryDataOperationEnumE1ELNS_10TailNumberE10EEEvPKDF16_PKS5_PDF16_PvRKNSI_7ProblemERKT_RKT0_RKT1_.b_block_slice_copy_step@rel32@lo+4
	s_addc_u32 s9, s9, __const._ZN2ck28GridwiseGemm_xdl_cshuffle_v3INS_13tensor_layout4gemm8RowMajorENS2_11ColumnMajorES3_DF16_NS_9f8_fnuz_tEfDF16_DF16_NS_16tensor_operation12element_wise11PassThroughES8_S8_LNS6_6device18GemmSpecializationE0ELi64ELi32ELi32ELi256ELi8ELi16ELi16ELi16ELi2ELi2ENS_8SequenceIJLi32ELi2ELi1EEEENSB_IJLi1ELi0ELi2EEEESD_Li2ELi8ELi8ELb0ELi0ENSB_IJLi16ELi4ELi1EEEESD_SD_Li2ELi16ELi16ELb0ELi0ELi1ELi1ENSB_IJLi1ELi16ELi1ELi4EEEELi4ELNS_26BlockGemmPipelineSchedulerE1ELNS_24BlockGemmPipelineVersionE0EDF16_DF16_Lb0ELb0ELb0ELi0ELb0EE3RunIKNS_16TensorDescriptorINS_5TupleIJNS_5EmbedINSL_IJiiEEENSL_IJiNS_17integral_constantIiLi1EEEEEELb0EEENS_7UnMergeISN_Lb0EEENS_11PassThroughIiEEEEENSL_IJNSB_IJLi0EEEENSB_IJLi2EEEENSB_IJLi1EEEEEEENSL_IJNSB_IJLi1ELi2EEEENSB_IJLi3ELi4EEEENSB_IJLi5EEEEEEENSB_IJLi3ELi5ELi4EEEElEES17_KNSK_INSL_IJSR_NS_8RightPadIiiLb0EEES19_NSS_INSL_IJiNSO_IiLi32EEEEEELb0EEES1C_EEENSL_IJSX_SZ_SY_NSB_IJLi3EEEENSB_IJLi4EEEEEEENSL_IJS11_S1E_S1F_NSB_IJLi5ELi6EEEENSB_IJLi7ELi8EEEEEEENSB_IJLi5ELi6ELi7ELi8EEEElEELb1ELNS_25InMemoryDataOperationEnumE1ELNS_10TailNumberE10EEEvPKDF16_PKS5_PDF16_PvRKNSI_7ProblemERKT_RKT0_RKT1_.b_block_slice_copy_step@rel32@hi+12
	s_load_dwordx2 s[8:9], s[8:9], 0x0
	buffer_store_dword v1, off, s[0:3], 0 offset:1364
	buffer_store_dword v0, off, s[0:3], 0 offset:1360
	buffer_store_short v0, off, s[0:3], 0 offset:1370
	buffer_store_dword v1, off, s[0:3], 0 offset:1380
	v_mov_b32_e32 v1, 0x4000
	buffer_store_dword v1, off, s[0:3], 0 offset:1376
	buffer_store_byte v0, off, s[0:3], 0 offset:1385
	s_waitcnt lgkmcnt(0)
	v_mov_b32_e32 v1, s7
	buffer_store_dword v1, off, s[0:3], 0 offset:1396
	v_mov_b32_e32 v1, s6
	v_lshlrev_b32_e32 v130, 2, v128
	buffer_store_dword v1, off, s[0:3], 0 offset:1392
	buffer_store_dword v0, off, s[0:3], 0 offset:1400
	v_mov_b32_e32 v1, s9
	v_and_b32_e32 v131, 0xc0, v130
	buffer_store_dword v1, off, s[0:3], 0 offset:1408
	v_mov_b32_e32 v1, s8
	v_lshrrev_b32_e32 v2, 3, v131
	buffer_store_dword v1, off, s[0:3], 0 offset:1404
	v_lshlrev_b32_e32 v1, 8, v129
	v_xor_b32_e32 v3, v2, v129
	buffer_store_dword v0, off, s[0:3], 0 offset:1412
	v_lshl_or_b32 v4, v3, 3, v1
	buffer_store_dword v0, off, s[0:3], 0 offset:1484
	buffer_store_dword v0, off, s[0:3], 0 offset:1480
	buffer_store_dword v0, off, s[0:3], 0 offset:1476
	buffer_store_dword v0, off, s[0:3], 0 offset:1472
	buffer_store_dword v0, off, s[0:3], 0 offset:1468
	buffer_store_dword v0, off, s[0:3], 0 offset:1464
	buffer_store_dword v0, off, s[0:3], 0 offset:1460
	buffer_store_dword v0, off, s[0:3], 0 offset:1456
	buffer_store_dword v0, off, s[0:3], 0 offset:1452
	buffer_store_dword v0, off, s[0:3], 0 offset:1448
	buffer_store_dword v0, off, s[0:3], 0 offset:1444
	buffer_store_dword v0, off, s[0:3], 0 offset:1440
	buffer_store_dword v0, off, s[0:3], 0 offset:1436
	buffer_store_dword v0, off, s[0:3], 0 offset:1432
	buffer_store_dword v0, off, s[0:3], 0 offset:1428
	buffer_store_dword v0, off, s[0:3], 0 offset:1424
	buffer_store_dword v4, off, s[0:3], 0 offset:1488
	buffer_store_dword v3, off, s[0:3], 0 offset:1492
	buffer_store_dword v129, off, s[0:3], 0 offset:1496
	buffer_store_dword v0, off, s[0:3], 0 offset:1500
	buffer_store_dword v129, off, s[0:3], 0 offset:1504
	buffer_store_dword v2, off, s[0:3], 0 offset:1508
	buffer_store_dword v0, off, s[0:3], 0 offset:1512
	buffer_store_dword v2, off, s[0:3], 0 offset:1516
	buffer_store_dword v0, off, s[0:3], 0 offset:1520
	buffer_store_dword v129, off, s[0:3], 0 offset:1524
	buffer_store_dword v0, off, s[0:3], 0 offset:1528
	buffer_store_dword v2, off, s[0:3], 0 offset:1532
	buffer_load_dword v5, off, s[0:3], 0 offset:1856
	buffer_load_dword v6, off, s[0:3], 0 offset:1860
	v_lshrrev_b32_e32 v7, 4, v131
	v_xor_b32_e32 v8, v7, v129
	v_lshl_or_b32 v1, v8, 4, v1
	buffer_store_dword v129, off, s[0:3], 0 offset:1536
	buffer_store_dword v0, off, s[0:3], 0 offset:1540
	;; [unrolled: 1-line block ×76, first 2 shown]
	s_mov_b64 s[4:5], src_private_base
	v_mov_b32_e32 v2, 0x730
	v_mov_b32_e32 v3, s5
	;; [unrolled: 1-line block ×20, first 2 shown]
	s_getpc_b64 s[6:7]
	s_add_u32 s6, s6, _ZNK2ck31BlockwiseGemmXdlops_pipeline_v1ILNS_26BlockGemmPipelineSchedulerE1ELi64EDF16_NS_9f8_fnuz_tEDF16_fNS_16TensorDescriptorINS_5TupleIJNS_5EmbedINS4_IJNS_17integral_constantIiLi32EEES7_NS6_IiLi8EEEEEENS4_IJS8_NS6_IiLi256EEENS6_IiLi1EEEEEELb0EEENS_3XorINS4_IJS7_S7_EEELb1EEENS_11PassThroughIS8_EENS_7UnMergeINS4_IJS7_SB_EEELb0EEENSH_IS7_EESI_SM_NS_21Merge_v3_division_modISK_EESI_EEENS4_IJNS_8SequenceIJLi0EEEENSQ_IJLi2ELi1EEEENSQ_IJLi3EEEENSQ_IJLi5EEEENSQ_IJLi4EEEENSQ_IJLi6EEEENSQ_IJLi7EEEENSQ_IJLi9ELi8EEEENSQ_IJLi10EEEEEEENS4_IJNSQ_IJLi1ELi2ELi3EEEENSQ_IJLi4ELi5EEEESW_NSQ_IJLi7ELi8EEEENSQ_IJLi9EEEESZ_NSQ_IJLi11EEEENSQ_IJLi12EEEENSQ_IJLi13EEEEEEENSQ_IJLi11ELi12ELi13EEEENS6_IlLl8192EEEEENS3_INS4_IJNS5_INS4_IJNS6_IiLi16EEES7_S1C_EEENS4_IJS1C_SA_SB_EEELb0EEENSE_INS4_IJS7_S1C_EEELb1EEENSH_IS1C_EENSJ_INS4_IJS1C_SB_EEELb0EEESM_S1I_S1I_SO_S1I_EEES10_S18_S19_S1A_EENS3_INS4_IJSD_SG_SI_SL_SM_SI_SM_SO_SI_NSN_INS4_IJS7_S8_EEEEENSJ_INS4_IJNS6_IiLi2EEESB_S1C_EEELb0EEEEEENS4_IJSR_SS_ST_SU_SV_SW_SX_SY_SZ_NSQ_IJLi11ELi13EEEES16_EEENS4_IJS11_S12_SW_S13_S14_SZ_S15_S16_S17_NSQ_IJLi14EEEENSQ_IJLi15ELi16ELi17EEEEEEENSQ_IJLi15ELi16ELi17ELi14EEEES1A_EENS3_INS4_IJS1F_S1H_S1I_S1K_SM_S1I_S1I_SO_S1I_NSN_INS4_IJS1C_S1C_EEEEES1R_EEES1U_S1X_S1Y_S1A_EELi8ELi16ELi32ELi32ELi256ELi16ELi16ELi2ELi2ELi16ELb0EE3RunILb1ELNS_10TailNumberE10ENS3_INS4_IJNS5_INS4_IJiiEEENS4_IJiSB_EEELb0EEENSJ_IS27_Lb0EEENSH_IiEEEEENS4_IJSR_NSQ_IJLi2EEEENSQ_IJLi1EEEEEEENS4_IJNSQ_IJLi1ELi2EEEENSQ_IJLi3ELi4EEEESU_EEENSQ_IJLi3ELi5ELi4EEEElEES1B_NS_35ThreadGroupTensorSliceTransfer_v4r1INS_15ThisThreadBlockILi64EEENS_16tensor_operation12element_wise11PassThroughES2Q_LNS_25InMemoryDataOperationEnumE0ENSQ_IJLi32ELi32ELi8EEEENSQ_IJLi32ELi2ELi1EEEENSQ_IJLi1ELi0ELi2EEEEDF16_DF16_RKS2K_KS1B_S2U_NSQ_IJLi0ELi1ELi2EEEELi2ELi2ELi8ELi8ELi1ELi1ELb0ELb1ELi1EiEENS_13DynamicBufferILNS_16AddressSpaceEnumE1EKDF16_lLb1ELNS_22AmdBufferCoherenceEnumE0EiEENS30_ILS31_2EDF16_S1A_Lb1ELS33_0EiEENS4_IJiiiEEES2K_S1M_NS2L_IS2N_S2Q_S2Q_LS2R_0ENSQ_IJLi16ELi32ELi16EEEENSQ_IJLi16ELi4ELi1EEEES2U_S2_S2_S2W_KS1M_S2U_S2Y_Li2ELi2ELi16ELi16ELi1ELi1ELb0ELb1ELi1EiEENS30_ILS31_1EKS2_lLb1ELS33_0EiEENS30_ILS31_2ES2_S1A_Lb1ELS33_0EiEES36_NS_25StaticBufferTupleOfVectorILS31_4EfLi4ELi4ELb1ELb0EEEEEvRKT1_RKT2_RT3_RKT4_RT5_RKT6_RKT7_RKT8_RT9_RKT10_RT11_RKT12_RT13_i@rel32@lo+4
	s_addc_u32 s7, s7, _ZNK2ck31BlockwiseGemmXdlops_pipeline_v1ILNS_26BlockGemmPipelineSchedulerE1ELi64EDF16_NS_9f8_fnuz_tEDF16_fNS_16TensorDescriptorINS_5TupleIJNS_5EmbedINS4_IJNS_17integral_constantIiLi32EEES7_NS6_IiLi8EEEEEENS4_IJS8_NS6_IiLi256EEENS6_IiLi1EEEEEELb0EEENS_3XorINS4_IJS7_S7_EEELb1EEENS_11PassThroughIS8_EENS_7UnMergeINS4_IJS7_SB_EEELb0EEENSH_IS7_EESI_SM_NS_21Merge_v3_division_modISK_EESI_EEENS4_IJNS_8SequenceIJLi0EEEENSQ_IJLi2ELi1EEEENSQ_IJLi3EEEENSQ_IJLi5EEEENSQ_IJLi4EEEENSQ_IJLi6EEEENSQ_IJLi7EEEENSQ_IJLi9ELi8EEEENSQ_IJLi10EEEEEEENS4_IJNSQ_IJLi1ELi2ELi3EEEENSQ_IJLi4ELi5EEEESW_NSQ_IJLi7ELi8EEEENSQ_IJLi9EEEESZ_NSQ_IJLi11EEEENSQ_IJLi12EEEENSQ_IJLi13EEEEEEENSQ_IJLi11ELi12ELi13EEEENS6_IlLl8192EEEEENS3_INS4_IJNS5_INS4_IJNS6_IiLi16EEES7_S1C_EEENS4_IJS1C_SA_SB_EEELb0EEENSE_INS4_IJS7_S1C_EEELb1EEENSH_IS1C_EENSJ_INS4_IJS1C_SB_EEELb0EEESM_S1I_S1I_SO_S1I_EEES10_S18_S19_S1A_EENS3_INS4_IJSD_SG_SI_SL_SM_SI_SM_SO_SI_NSN_INS4_IJS7_S8_EEEEENSJ_INS4_IJNS6_IiLi2EEESB_S1C_EEELb0EEEEEENS4_IJSR_SS_ST_SU_SV_SW_SX_SY_SZ_NSQ_IJLi11ELi13EEEES16_EEENS4_IJS11_S12_SW_S13_S14_SZ_S15_S16_S17_NSQ_IJLi14EEEENSQ_IJLi15ELi16ELi17EEEEEEENSQ_IJLi15ELi16ELi17ELi14EEEES1A_EENS3_INS4_IJS1F_S1H_S1I_S1K_SM_S1I_S1I_SO_S1I_NSN_INS4_IJS1C_S1C_EEEEES1R_EEES1U_S1X_S1Y_S1A_EELi8ELi16ELi32ELi32ELi256ELi16ELi16ELi2ELi2ELi16ELb0EE3RunILb1ELNS_10TailNumberE10ENS3_INS4_IJNS5_INS4_IJiiEEENS4_IJiSB_EEELb0EEENSJ_IS27_Lb0EEENSH_IiEEEEENS4_IJSR_NSQ_IJLi2EEEENSQ_IJLi1EEEEEEENS4_IJNSQ_IJLi1ELi2EEEENSQ_IJLi3ELi4EEEESU_EEENSQ_IJLi3ELi5ELi4EEEElEES1B_NS_35ThreadGroupTensorSliceTransfer_v4r1INS_15ThisThreadBlockILi64EEENS_16tensor_operation12element_wise11PassThroughES2Q_LNS_25InMemoryDataOperationEnumE0ENSQ_IJLi32ELi32ELi8EEEENSQ_IJLi32ELi2ELi1EEEENSQ_IJLi1ELi0ELi2EEEEDF16_DF16_RKS2K_KS1B_S2U_NSQ_IJLi0ELi1ELi2EEEELi2ELi2ELi8ELi8ELi1ELi1ELb0ELb1ELi1EiEENS_13DynamicBufferILNS_16AddressSpaceEnumE1EKDF16_lLb1ELNS_22AmdBufferCoherenceEnumE0EiEENS30_ILS31_2EDF16_S1A_Lb1ELS33_0EiEENS4_IJiiiEEES2K_S1M_NS2L_IS2N_S2Q_S2Q_LS2R_0ENSQ_IJLi16ELi32ELi16EEEENSQ_IJLi16ELi4ELi1EEEES2U_S2_S2_S2W_KS1M_S2U_S2Y_Li2ELi2ELi16ELi16ELi1ELi1ELb0ELb1ELi1EiEENS30_ILS31_1EKS2_lLb1ELS33_0EiEENS30_ILS31_2ES2_S1A_Lb1ELS33_0EiEES36_NS_25StaticBufferTupleOfVectorILS31_4EfLi4ELi4ELb1ELb0EEEEEvRKT1_RKT2_RT3_RKT4_RT5_RKT6_RKT7_RKT8_RT9_RKT10_RT11_RKT12_RT13_i@rel32@hi+12
	s_waitcnt vmcnt(62)
	v_mul_lo_u32 v0, v6, v5
	v_ashrrev_i32_e32 v1, 31, v0
	v_add_u32_sdwa v0, v0, v1 dst_sel:DWORD dst_unused:UNUSED_PAD src0_sel:DWORD src1_sel:BYTE_3
	v_ashrrev_i32_e32 v0, 8, v0
	v_readfirstlane_b32 s4, v0
	v_mov_b32_e32 v0, 0x590
	v_mov_b32_e32 v1, s5
	;; [unrolled: 1-line block ×5, first 2 shown]
	s_swappc_b64 s[30:31], s[6:7]
	s_waitcnt lgkmcnt(0)
	; wave barrier
	buffer_load_dword v1, off, s[0:3], 0 offset:1776
	buffer_load_dword v4, off, s[0:3], 0 offset:1780
	;; [unrolled: 1-line block ×4, first 2 shown]
	v_lshrrev_b32_e32 v7, 2, v128
	v_and_b32_e32 v3, 12, v130
	v_or_b32_e32 v2, v131, v129
	s_add_i32 s4, s37, s35
	v_or_b32_e32 v0, s34, v3
	v_or_b32_e32 v9, s29, v7
	v_lshlrev_b32_e32 v10, 1, v2
	v_lshlrev_b32_e32 v11, 1, v3
	s_lshl_b32 s46, s4, 1
	v_cmp_gt_i32_e32 vcc, s37, v0
	v_bfrev_b32_e32 v8, 1
	s_mov_b32 s47, 0x20000
	s_lshl_b32 s8, s41, 4
	s_waitcnt vmcnt(3)
	v_mad_u64_u32 v[2:3], s[4:5], v9, s41, v[0:1]
	v_cvt_f16_f32_e32 v1, v1
	s_waitcnt vmcnt(2)
	v_cvt_f16_f32_e32 v4, v4
	s_waitcnt vmcnt(1)
	v_cvt_f16_f32_e32 v5, v5
	v_lshl_or_b32 v3, v7, 5, v11
	s_waitcnt vmcnt(0)
	v_cvt_f16_f32_e32 v6, v6
	ds_write_b16 v10, v1
	ds_write_b16 v10, v4 offset:32
	ds_write_b16 v10, v5 offset:64
	;; [unrolled: 1-line block ×3, first 2 shown]
	s_waitcnt lgkmcnt(0)
	; wave barrier
	ds_read_b64 v[4:5], v3
	v_cmp_gt_i32_e64 s[4:5], s36, v9
	s_and_b64 s[6:7], s[4:5], vcc
	v_cndmask_b32_e64 v1, v8, 0, s[6:7]
	v_lshl_add_u32 v1, v2, 1, v1
	s_waitcnt lgkmcnt(0)
	buffer_atomic_pk_add_f16 v4, v1, s[44:47], 0 offen
	buffer_atomic_pk_add_f16 v5, v1, s[44:47], 4 offen
	s_waitcnt lgkmcnt(0)
	; wave barrier
	buffer_load_dword v1, off, s[0:3], 0 offset:1792
	buffer_load_dword v4, off, s[0:3], 0 offset:1796
	;; [unrolled: 1-line block ×4, first 2 shown]
	v_or_b32_e32 v7, 16, v0
	v_cmp_gt_i32_e64 s[6:7], s37, v7
	s_and_b64 s[4:5], s[4:5], s[6:7]
	v_add_u32_e32 v11, 16, v2
	v_add_u32_e32 v2, s8, v2
	s_waitcnt vmcnt(3)
	v_cvt_f16_f32_e32 v0, v1
	s_waitcnt vmcnt(2)
	v_cvt_f16_f32_e32 v1, v4
	;; [unrolled: 2-line block ×4, first 2 shown]
	ds_write_b16 v10, v0
	ds_write_b16 v10, v1 offset:32
	ds_write_b16 v10, v4 offset:64
	;; [unrolled: 1-line block ×3, first 2 shown]
	s_waitcnt lgkmcnt(0)
	; wave barrier
	ds_read_b64 v[0:1], v3
	v_cndmask_b32_e64 v4, v8, 0, s[4:5]
	v_lshl_add_u32 v4, v11, 1, v4
	s_waitcnt lgkmcnt(0)
	buffer_atomic_pk_add_f16 v0, v4, s[44:47], 0 offen
	buffer_atomic_pk_add_f16 v1, v4, s[44:47], 4 offen
	s_waitcnt lgkmcnt(0)
	; wave barrier
	buffer_load_dword v0, off, s[0:3], 0 offset:1824
	buffer_load_dword v1, off, s[0:3], 0 offset:1828
	;; [unrolled: 1-line block ×4, first 2 shown]
	v_or_b32_e32 v6, 16, v9
	v_cmp_gt_i32_e64 s[4:5], s36, v6
	s_and_b64 s[6:7], s[4:5], s[6:7]
	s_and_b64 s[4:5], vcc, s[4:5]
	s_waitcnt vmcnt(3)
	v_cvt_f16_f32_e32 v0, v0
	s_waitcnt vmcnt(2)
	v_cvt_f16_f32_e32 v1, v1
	;; [unrolled: 2-line block ×4, first 2 shown]
	ds_write_b16 v10, v0
	ds_write_b16 v10, v1 offset:32
	ds_write_b16 v10, v4 offset:64
	;; [unrolled: 1-line block ×3, first 2 shown]
	s_waitcnt lgkmcnt(0)
	; wave barrier
	ds_read_b64 v[0:1], v3
	v_add_u32_e32 v4, s8, v11
	v_cndmask_b32_e64 v5, v8, 0, s[6:7]
	v_lshl_add_u32 v4, v4, 1, v5
	s_waitcnt lgkmcnt(0)
	buffer_atomic_pk_add_f16 v0, v4, s[44:47], 0 offen
	buffer_atomic_pk_add_f16 v1, v4, s[44:47], 4 offen
	s_waitcnt lgkmcnt(0)
	; wave barrier
	buffer_load_dword v0, off, s[0:3], 0 offset:1808
	buffer_load_dword v1, off, s[0:3], 0 offset:1812
	;; [unrolled: 1-line block ×4, first 2 shown]
	s_waitcnt vmcnt(3)
	v_cvt_f16_f32_e32 v0, v0
	s_waitcnt vmcnt(2)
	v_cvt_f16_f32_e32 v1, v1
	;; [unrolled: 2-line block ×4, first 2 shown]
	ds_write_b16 v10, v0
	ds_write_b16 v10, v1 offset:32
	ds_write_b16 v10, v4 offset:64
	;; [unrolled: 1-line block ×3, first 2 shown]
	s_waitcnt lgkmcnt(0)
	; wave barrier
	ds_read_b64 v[0:1], v3
	v_cndmask_b32_e64 v3, v8, 0, s[4:5]
	v_lshl_add_u32 v2, v2, 1, v3
	s_waitcnt lgkmcnt(0)
	buffer_atomic_pk_add_f16 v0, v2, s[44:47], 0 offen
	buffer_atomic_pk_add_f16 v1, v2, s[44:47], 4 offen
	s_endpgm
	.section	.rodata,"a",@progbits
	.p2align	6, 0x0
	.amdhsa_kernel _ZN2ck27kernel_gemm_xdl_cshuffle_v3INS_28GridwiseGemm_xdl_cshuffle_v3INS_13tensor_layout4gemm8RowMajorENS3_11ColumnMajorES4_DF16_NS_9f8_fnuz_tEfDF16_DF16_NS_16tensor_operation12element_wise11PassThroughES9_S9_LNS7_6device18GemmSpecializationE0ELi64ELi32ELi32ELi256ELi8ELi16ELi16ELi16ELi2ELi2ENS_8SequenceIJLi32ELi2ELi1EEEENSC_IJLi1ELi0ELi2EEEESE_Li2ELi8ELi8ELb0ELi0ENSC_IJLi16ELi4ELi1EEEESE_SE_Li2ELi16ELi16ELb0ELi0ELi1ELi1ENSC_IJLi1ELi16ELi1ELi4EEEELi4ELNS_26BlockGemmPipelineSchedulerE1ELNS_24BlockGemmPipelineVersionE0EDF16_DF16_Lb0ELb0ELb0ELi0ELb0EEELb1ELNS_25InMemoryDataOperationEnumE1ELi2ELNS_10TailNumberE10EEEvNT_8ArgumentE
		.amdhsa_group_segment_fixed_size 24576
		.amdhsa_private_segment_fixed_size 2224
		.amdhsa_kernarg_size 112
		.amdhsa_user_sgpr_count 8
		.amdhsa_user_sgpr_private_segment_buffer 1
		.amdhsa_user_sgpr_dispatch_ptr 0
		.amdhsa_user_sgpr_queue_ptr 0
		.amdhsa_user_sgpr_kernarg_segment_ptr 1
		.amdhsa_user_sgpr_dispatch_id 0
		.amdhsa_user_sgpr_flat_scratch_init 1
		.amdhsa_user_sgpr_kernarg_preload_length 0
		.amdhsa_user_sgpr_kernarg_preload_offset 0
		.amdhsa_user_sgpr_private_segment_size 0
		.amdhsa_uses_dynamic_stack 0
		.amdhsa_system_sgpr_private_segment_wavefront_offset 1
		.amdhsa_system_sgpr_workgroup_id_x 1
		.amdhsa_system_sgpr_workgroup_id_y 0
		.amdhsa_system_sgpr_workgroup_id_z 1
		.amdhsa_system_sgpr_workgroup_info 0
		.amdhsa_system_vgpr_workitem_id 0
		.amdhsa_next_free_vgpr 168
		.amdhsa_next_free_sgpr 48
		.amdhsa_accum_offset 132
		.amdhsa_reserve_vcc 1
		.amdhsa_reserve_flat_scratch 1
		.amdhsa_float_round_mode_32 0
		.amdhsa_float_round_mode_16_64 0
		.amdhsa_float_denorm_mode_32 3
		.amdhsa_float_denorm_mode_16_64 3
		.amdhsa_dx10_clamp 1
		.amdhsa_ieee_mode 1
		.amdhsa_fp16_overflow 0
		.amdhsa_tg_split 0
		.amdhsa_exception_fp_ieee_invalid_op 0
		.amdhsa_exception_fp_denorm_src 0
		.amdhsa_exception_fp_ieee_div_zero 0
		.amdhsa_exception_fp_ieee_overflow 0
		.amdhsa_exception_fp_ieee_underflow 0
		.amdhsa_exception_fp_ieee_inexact 0
		.amdhsa_exception_int_div_zero 0
	.end_amdhsa_kernel
	.section	.text._ZN2ck27kernel_gemm_xdl_cshuffle_v3INS_28GridwiseGemm_xdl_cshuffle_v3INS_13tensor_layout4gemm8RowMajorENS3_11ColumnMajorES4_DF16_NS_9f8_fnuz_tEfDF16_DF16_NS_16tensor_operation12element_wise11PassThroughES9_S9_LNS7_6device18GemmSpecializationE0ELi64ELi32ELi32ELi256ELi8ELi16ELi16ELi16ELi2ELi2ENS_8SequenceIJLi32ELi2ELi1EEEENSC_IJLi1ELi0ELi2EEEESE_Li2ELi8ELi8ELb0ELi0ENSC_IJLi16ELi4ELi1EEEESE_SE_Li2ELi16ELi16ELb0ELi0ELi1ELi1ENSC_IJLi1ELi16ELi1ELi4EEEELi4ELNS_26BlockGemmPipelineSchedulerE1ELNS_24BlockGemmPipelineVersionE0EDF16_DF16_Lb0ELb0ELb0ELi0ELb0EEELb1ELNS_25InMemoryDataOperationEnumE1ELi2ELNS_10TailNumberE10EEEvNT_8ArgumentE,"axG",@progbits,_ZN2ck27kernel_gemm_xdl_cshuffle_v3INS_28GridwiseGemm_xdl_cshuffle_v3INS_13tensor_layout4gemm8RowMajorENS3_11ColumnMajorES4_DF16_NS_9f8_fnuz_tEfDF16_DF16_NS_16tensor_operation12element_wise11PassThroughES9_S9_LNS7_6device18GemmSpecializationE0ELi64ELi32ELi32ELi256ELi8ELi16ELi16ELi16ELi2ELi2ENS_8SequenceIJLi32ELi2ELi1EEEENSC_IJLi1ELi0ELi2EEEESE_Li2ELi8ELi8ELb0ELi0ENSC_IJLi16ELi4ELi1EEEESE_SE_Li2ELi16ELi16ELb0ELi0ELi1ELi1ENSC_IJLi1ELi16ELi1ELi4EEEELi4ELNS_26BlockGemmPipelineSchedulerE1ELNS_24BlockGemmPipelineVersionE0EDF16_DF16_Lb0ELb0ELb0ELi0ELb0EEELb1ELNS_25InMemoryDataOperationEnumE1ELi2ELNS_10TailNumberE10EEEvNT_8ArgumentE,comdat
.Lfunc_end5:
	.size	_ZN2ck27kernel_gemm_xdl_cshuffle_v3INS_28GridwiseGemm_xdl_cshuffle_v3INS_13tensor_layout4gemm8RowMajorENS3_11ColumnMajorES4_DF16_NS_9f8_fnuz_tEfDF16_DF16_NS_16tensor_operation12element_wise11PassThroughES9_S9_LNS7_6device18GemmSpecializationE0ELi64ELi32ELi32ELi256ELi8ELi16ELi16ELi16ELi2ELi2ENS_8SequenceIJLi32ELi2ELi1EEEENSC_IJLi1ELi0ELi2EEEESE_Li2ELi8ELi8ELb0ELi0ENSC_IJLi16ELi4ELi1EEEESE_SE_Li2ELi16ELi16ELb0ELi0ELi1ELi1ENSC_IJLi1ELi16ELi1ELi4EEEELi4ELNS_26BlockGemmPipelineSchedulerE1ELNS_24BlockGemmPipelineVersionE0EDF16_DF16_Lb0ELb0ELb0ELi0ELb0EEELb1ELNS_25InMemoryDataOperationEnumE1ELi2ELNS_10TailNumberE10EEEvNT_8ArgumentE, .Lfunc_end5-_ZN2ck27kernel_gemm_xdl_cshuffle_v3INS_28GridwiseGemm_xdl_cshuffle_v3INS_13tensor_layout4gemm8RowMajorENS3_11ColumnMajorES4_DF16_NS_9f8_fnuz_tEfDF16_DF16_NS_16tensor_operation12element_wise11PassThroughES9_S9_LNS7_6device18GemmSpecializationE0ELi64ELi32ELi32ELi256ELi8ELi16ELi16ELi16ELi2ELi2ENS_8SequenceIJLi32ELi2ELi1EEEENSC_IJLi1ELi0ELi2EEEESE_Li2ELi8ELi8ELb0ELi0ENSC_IJLi16ELi4ELi1EEEESE_SE_Li2ELi16ELi16ELb0ELi0ELi1ELi1ENSC_IJLi1ELi16ELi1ELi4EEEELi4ELNS_26BlockGemmPipelineSchedulerE1ELNS_24BlockGemmPipelineVersionE0EDF16_DF16_Lb0ELb0ELb0ELi0ELb0EEELb1ELNS_25InMemoryDataOperationEnumE1ELi2ELNS_10TailNumberE10EEEvNT_8ArgumentE
                                        ; -- End function
	.section	.AMDGPU.csdata,"",@progbits
; Kernel info:
; codeLenInByte = 5592
; NumSgprs: 54
; NumVgprs: 132
; NumAgprs: 36
; TotalNumVgprs: 168
; ScratchSize: 2224
; MemoryBound: 0
; FloatMode: 240
; IeeeMode: 1
; LDSByteSize: 24576 bytes/workgroup (compile time only)
; SGPRBlocks: 6
; VGPRBlocks: 20
; NumSGPRsForWavesPerEU: 54
; NumVGPRsForWavesPerEU: 168
; AccumOffset: 132
; Occupancy: 1
; WaveLimiterHint : 1
; COMPUTE_PGM_RSRC2:SCRATCH_EN: 1
; COMPUTE_PGM_RSRC2:USER_SGPR: 8
; COMPUTE_PGM_RSRC2:TRAP_HANDLER: 0
; COMPUTE_PGM_RSRC2:TGID_X_EN: 1
; COMPUTE_PGM_RSRC2:TGID_Y_EN: 0
; COMPUTE_PGM_RSRC2:TGID_Z_EN: 1
; COMPUTE_PGM_RSRC2:TIDIG_COMP_CNT: 0
; COMPUTE_PGM_RSRC3_GFX90A:ACCUM_OFFSET: 32
; COMPUTE_PGM_RSRC3_GFX90A:TG_SPLIT: 0
	.section	.text._ZN2ck27kernel_gemm_xdl_cshuffle_v3INS_28GridwiseGemm_xdl_cshuffle_v3INS_13tensor_layout4gemm8RowMajorENS3_11ColumnMajorES4_DF16_NS_9f8_fnuz_tEfDF16_DF16_NS_16tensor_operation12element_wise11PassThroughES9_S9_LNS7_6device18GemmSpecializationE0ELi64ELi32ELi32ELi256ELi8ELi16ELi16ELi16ELi2ELi2ENS_8SequenceIJLi32ELi2ELi1EEEENSC_IJLi1ELi0ELi2EEEESE_Li2ELi8ELi8ELb0ELi0ENSC_IJLi16ELi4ELi1EEEESE_SE_Li2ELi16ELi16ELb0ELi0ELi1ELi1ENSC_IJLi1ELi16ELi1ELi4EEEELi4ELNS_26BlockGemmPipelineSchedulerE1ELNS_24BlockGemmPipelineVersionE0EDF16_DF16_Lb0ELb0ELb0ELi0ELb0EEELb1ELNS_25InMemoryDataOperationEnumE0ELi2ELNS_10TailNumberE10EEEvNT_8ArgumentE,"axG",@progbits,_ZN2ck27kernel_gemm_xdl_cshuffle_v3INS_28GridwiseGemm_xdl_cshuffle_v3INS_13tensor_layout4gemm8RowMajorENS3_11ColumnMajorES4_DF16_NS_9f8_fnuz_tEfDF16_DF16_NS_16tensor_operation12element_wise11PassThroughES9_S9_LNS7_6device18GemmSpecializationE0ELi64ELi32ELi32ELi256ELi8ELi16ELi16ELi16ELi2ELi2ENS_8SequenceIJLi32ELi2ELi1EEEENSC_IJLi1ELi0ELi2EEEESE_Li2ELi8ELi8ELb0ELi0ENSC_IJLi16ELi4ELi1EEEESE_SE_Li2ELi16ELi16ELb0ELi0ELi1ELi1ENSC_IJLi1ELi16ELi1ELi4EEEELi4ELNS_26BlockGemmPipelineSchedulerE1ELNS_24BlockGemmPipelineVersionE0EDF16_DF16_Lb0ELb0ELb0ELi0ELb0EEELb1ELNS_25InMemoryDataOperationEnumE0ELi2ELNS_10TailNumberE10EEEvNT_8ArgumentE,comdat
	.protected	_ZN2ck27kernel_gemm_xdl_cshuffle_v3INS_28GridwiseGemm_xdl_cshuffle_v3INS_13tensor_layout4gemm8RowMajorENS3_11ColumnMajorES4_DF16_NS_9f8_fnuz_tEfDF16_DF16_NS_16tensor_operation12element_wise11PassThroughES9_S9_LNS7_6device18GemmSpecializationE0ELi64ELi32ELi32ELi256ELi8ELi16ELi16ELi16ELi2ELi2ENS_8SequenceIJLi32ELi2ELi1EEEENSC_IJLi1ELi0ELi2EEEESE_Li2ELi8ELi8ELb0ELi0ENSC_IJLi16ELi4ELi1EEEESE_SE_Li2ELi16ELi16ELb0ELi0ELi1ELi1ENSC_IJLi1ELi16ELi1ELi4EEEELi4ELNS_26BlockGemmPipelineSchedulerE1ELNS_24BlockGemmPipelineVersionE0EDF16_DF16_Lb0ELb0ELb0ELi0ELb0EEELb1ELNS_25InMemoryDataOperationEnumE0ELi2ELNS_10TailNumberE10EEEvNT_8ArgumentE ; -- Begin function _ZN2ck27kernel_gemm_xdl_cshuffle_v3INS_28GridwiseGemm_xdl_cshuffle_v3INS_13tensor_layout4gemm8RowMajorENS3_11ColumnMajorES4_DF16_NS_9f8_fnuz_tEfDF16_DF16_NS_16tensor_operation12element_wise11PassThroughES9_S9_LNS7_6device18GemmSpecializationE0ELi64ELi32ELi32ELi256ELi8ELi16ELi16ELi16ELi2ELi2ENS_8SequenceIJLi32ELi2ELi1EEEENSC_IJLi1ELi0ELi2EEEESE_Li2ELi8ELi8ELb0ELi0ENSC_IJLi16ELi4ELi1EEEESE_SE_Li2ELi16ELi16ELb0ELi0ELi1ELi1ENSC_IJLi1ELi16ELi1ELi4EEEELi4ELNS_26BlockGemmPipelineSchedulerE1ELNS_24BlockGemmPipelineVersionE0EDF16_DF16_Lb0ELb0ELb0ELi0ELb0EEELb1ELNS_25InMemoryDataOperationEnumE0ELi2ELNS_10TailNumberE10EEEvNT_8ArgumentE
	.globl	_ZN2ck27kernel_gemm_xdl_cshuffle_v3INS_28GridwiseGemm_xdl_cshuffle_v3INS_13tensor_layout4gemm8RowMajorENS3_11ColumnMajorES4_DF16_NS_9f8_fnuz_tEfDF16_DF16_NS_16tensor_operation12element_wise11PassThroughES9_S9_LNS7_6device18GemmSpecializationE0ELi64ELi32ELi32ELi256ELi8ELi16ELi16ELi16ELi2ELi2ENS_8SequenceIJLi32ELi2ELi1EEEENSC_IJLi1ELi0ELi2EEEESE_Li2ELi8ELi8ELb0ELi0ENSC_IJLi16ELi4ELi1EEEESE_SE_Li2ELi16ELi16ELb0ELi0ELi1ELi1ENSC_IJLi1ELi16ELi1ELi4EEEELi4ELNS_26BlockGemmPipelineSchedulerE1ELNS_24BlockGemmPipelineVersionE0EDF16_DF16_Lb0ELb0ELb0ELi0ELb0EEELb1ELNS_25InMemoryDataOperationEnumE0ELi2ELNS_10TailNumberE10EEEvNT_8ArgumentE
	.p2align	8
	.type	_ZN2ck27kernel_gemm_xdl_cshuffle_v3INS_28GridwiseGemm_xdl_cshuffle_v3INS_13tensor_layout4gemm8RowMajorENS3_11ColumnMajorES4_DF16_NS_9f8_fnuz_tEfDF16_DF16_NS_16tensor_operation12element_wise11PassThroughES9_S9_LNS7_6device18GemmSpecializationE0ELi64ELi32ELi32ELi256ELi8ELi16ELi16ELi16ELi2ELi2ENS_8SequenceIJLi32ELi2ELi1EEEENSC_IJLi1ELi0ELi2EEEESE_Li2ELi8ELi8ELb0ELi0ENSC_IJLi16ELi4ELi1EEEESE_SE_Li2ELi16ELi16ELb0ELi0ELi1ELi1ENSC_IJLi1ELi16ELi1ELi4EEEELi4ELNS_26BlockGemmPipelineSchedulerE1ELNS_24BlockGemmPipelineVersionE0EDF16_DF16_Lb0ELb0ELb0ELi0ELb0EEELb1ELNS_25InMemoryDataOperationEnumE0ELi2ELNS_10TailNumberE10EEEvNT_8ArgumentE,@function
_ZN2ck27kernel_gemm_xdl_cshuffle_v3INS_28GridwiseGemm_xdl_cshuffle_v3INS_13tensor_layout4gemm8RowMajorENS3_11ColumnMajorES4_DF16_NS_9f8_fnuz_tEfDF16_DF16_NS_16tensor_operation12element_wise11PassThroughES9_S9_LNS7_6device18GemmSpecializationE0ELi64ELi32ELi32ELi256ELi8ELi16ELi16ELi16ELi2ELi2ENS_8SequenceIJLi32ELi2ELi1EEEENSC_IJLi1ELi0ELi2EEEESE_Li2ELi8ELi8ELb0ELi0ENSC_IJLi16ELi4ELi1EEEESE_SE_Li2ELi16ELi16ELb0ELi0ELi1ELi1ENSC_IJLi1ELi16ELi1ELi4EEEELi4ELNS_26BlockGemmPipelineSchedulerE1ELNS_24BlockGemmPipelineVersionE0EDF16_DF16_Lb0ELb0ELb0ELi0ELb0EEELb1ELNS_25InMemoryDataOperationEnumE0ELi2ELNS_10TailNumberE10EEEvNT_8ArgumentE: ; @_ZN2ck27kernel_gemm_xdl_cshuffle_v3INS_28GridwiseGemm_xdl_cshuffle_v3INS_13tensor_layout4gemm8RowMajorENS3_11ColumnMajorES4_DF16_NS_9f8_fnuz_tEfDF16_DF16_NS_16tensor_operation12element_wise11PassThroughES9_S9_LNS7_6device18GemmSpecializationE0ELi64ELi32ELi32ELi256ELi8ELi16ELi16ELi16ELi2ELi2ENS_8SequenceIJLi32ELi2ELi1EEEENSC_IJLi1ELi0ELi2EEEESE_Li2ELi8ELi8ELb0ELi0ENSC_IJLi16ELi4ELi1EEEESE_SE_Li2ELi16ELi16ELb0ELi0ELi1ELi1ENSC_IJLi1ELi16ELi1ELi4EEEELi4ELNS_26BlockGemmPipelineSchedulerE1ELNS_24BlockGemmPipelineVersionE0EDF16_DF16_Lb0ELb0ELb0ELi0ELb0EEELb1ELNS_25InMemoryDataOperationEnumE0ELi2ELNS_10TailNumberE10EEEvNT_8ArgumentE
; %bb.0:
	s_add_u32 flat_scratch_lo, s6, s10
	s_addc_u32 flat_scratch_hi, s7, 0
	s_add_u32 s0, s0, s10
	s_load_dwordx8 s[36:43], s[4:5], 0x10
	s_load_dword s16, s[4:5], 0x34
	s_load_dwordx2 s[10:11], s[4:5], 0x3c
	s_load_dword s17, s[4:5], 0x68
	s_load_dwordx2 s[6:7], s[4:5], 0x60
	s_load_dwordx4 s[12:15], s[4:5], 0x50
	s_addc_u32 s1, s1, 0
	s_waitcnt lgkmcnt(0)
	s_cmp_gt_i32 s42, 1
	s_cselect_b64 s[4:5], -1, 0
	s_bitcmp1_b32 s17, 0
	s_cselect_b64 s[18:19], -1, 0
	s_and_b64 s[4:5], s[4:5], s[18:19]
	v_mov_b32_e32 v128, v0
	s_andn2_b64 vcc, exec, s[4:5]
	s_mov_b64 s[4:5], 0
	s_mov_b32 s32, 0x1e800
	s_cbranch_vccnz .LBB6_2
; %bb.1:
	s_mul_i32 s4, s36, s9
	s_mul_i32 s4, s4, s37
	s_ashr_i32 s5, s4, 31
.LBB6_2:
	s_add_i32 s17, s42, -1
	s_mul_i32 s19, s17, s16
	s_sub_i32 s19, s38, s19
	s_mul_i32 s18, s16, s9
	s_cmp_lt_u32 s9, s17
	s_cselect_b32 s20, s16, s19
	s_ashr_i32 s19, s18, 31
	s_lshl_b64 s[16:17], s[18:19], 1
	s_add_u32 s16, s12, s16
	s_addc_u32 s17, s13, s17
	s_add_u32 s14, s14, s18
	s_addc_u32 s15, s15, s19
	s_add_u32 s12, 0, 0
	s_addc_u32 s13, s36, -1
	s_mul_i32 s18, s13, s39
	s_ashr_i32 s19, s18, 31
	s_ashr_i32 s21, s20, 31
	s_add_u32 s18, s18, s20
	s_mul_i32 s22, s36, s10
	s_addc_u32 s19, s19, s21
	s_lshl_b32 s22, s22, 3
	v_mov_b32_e32 v0, s39
	v_mov_b32_e32 v3, s10
	;; [unrolled: 1-line block ×4, first 2 shown]
	buffer_store_dword v0, off, s[0:3], 0 offset:1848
	v_mov_b32_e32 v0, 0
	buffer_store_dword v3, off, s[0:3], 0 offset:1856
	v_mov_b32_e32 v3, 8
	s_add_u32 s10, 0, 0
	buffer_store_dword v1, off, s[0:3], 0 offset:1840
	buffer_store_dword v2, off, s[0:3], 0 offset:1844
	buffer_store_dword v0, off, s[0:3], 0 offset:1852
	buffer_store_dword v3, off, s[0:3], 0 offset:1864
	buffer_store_dword v3, off, s[0:3], 0 offset:1860
	buffer_store_dword v1, off, s[0:3], 0 offset:1872
	v_mov_b32_e32 v1, s22
	s_addc_u32 s10, s37, -1
	buffer_store_dword v1, off, s[0:3], 0 offset:1876
	v_mov_b32_e32 v1, s19
	v_mov_b32_e32 v3, s18
	s_mul_i32 s10, s10, s40
	v_mov_b32_e32 v4, s37
	buffer_store_dword v1, off, s[0:3], 0 offset:1884
	buffer_store_dword v3, off, s[0:3], 0 offset:1880
	s_ashr_i32 s18, s10, 31
	buffer_store_dword v4, off, s[0:3], 0 offset:1888
	buffer_store_dword v2, off, s[0:3], 0 offset:1892
	v_mov_b32_e32 v2, s40
	s_add_u32 s10, s10, s20
	s_mul_i32 s19, s37, s11
	buffer_store_dword v2, off, s[0:3], 0 offset:1896
	buffer_store_dword v0, off, s[0:3], 0 offset:1900
	v_mov_b32_e32 v2, s11
	s_addc_u32 s18, s18, s21
	s_lshl_b32 s19, s19, 4
	buffer_store_dword v2, off, s[0:3], 0 offset:1904
	v_mov_b32_e32 v2, 16
	buffer_store_dword v2, off, s[0:3], 0 offset:1912
	buffer_store_dword v2, off, s[0:3], 0 offset:1908
	;; [unrolled: 1-line block ×3, first 2 shown]
	v_mov_b32_e32 v2, s19
	v_mov_b32_e32 v5, s17
	buffer_store_dword v2, off, s[0:3], 0 offset:1924
	v_mov_b32_e32 v2, s18
	v_mov_b32_e32 v4, s10
	buffer_store_dword v5, off, s[0:3], 0 offset:4
	v_mov_b32_e32 v5, s16
	buffer_store_dword v2, off, s[0:3], 0 offset:1932
	buffer_store_dword v4, off, s[0:3], 0 offset:1928
	buffer_store_dword v5, off, s[0:3], 0
	buffer_store_dword v1, off, s[0:3], 0 offset:12
	buffer_store_dword v3, off, s[0:3], 0 offset:8
	v_mov_b32_e32 v1, s15
	s_add_i32 s11, s36, -1
	s_mov_b32 s9, 0
	s_mov_b32 s10, 0
	buffer_store_dword v1, off, s[0:3], 0 offset:28
	v_mov_b32_e32 v1, s14
	s_cmp_lt_u32 s11, 32
	buffer_store_short v0, off, s[0:3], 0 offset:16
	buffer_store_dword v1, off, s[0:3], 0 offset:24
	buffer_store_dword v2, off, s[0:3], 0 offset:36
	buffer_store_dword v4, off, s[0:3], 0 offset:32
	buffer_store_byte v0, off, s[0:3], 0 offset:40
	s_cbranch_scc1 .LBB6_10
; %bb.3:
	s_add_i32 s9, s37, -1
	s_cmp_lt_u32 s9, 32
	s_cbranch_scc1 .LBB6_9
; %bb.4:
	s_add_i32 s9, s36, 31
	s_ashr_i32 s10, s9, 31
	s_lshr_b32 s10, s10, 27
	s_add_i32 s9, s9, s10
	s_ashr_i32 s11, s9, 5
	s_add_i32 s9, s37, 31
	s_ashr_i32 s10, s9, 31
	s_lshr_b32 s10, s10, 27
	s_add_i32 s9, s9, s10
	s_ashr_i32 s10, s9, 5
	s_mul_i32 s9, s10, s11
	s_add_i32 s14, s9, 7
	s_ashr_i32 s15, s14, 31
	s_lshr_b32 s15, s15, 29
	s_add_i32 s15, s14, s15
	s_ashr_i32 s14, s15, 3
	s_and_b32 s15, s15, -8
	s_sub_i32 s15, s9, s15
	s_ashr_i32 s9, s8, 31
	s_lshr_b32 s9, s9, 29
	s_add_i32 s18, s8, s9
	s_and_b32 s9, s18, -8
	s_add_i32 s15, s15, 8
	s_sub_i32 s17, s8, s9
	s_cmp_gt_i32 s17, s15
	s_cbranch_scc1 .LBB6_6
; %bb.5:
	s_mul_i32 s16, s14, s17
	s_ashr_i32 s8, s18, 3
	s_cbranch_execz .LBB6_7
	s_branch .LBB6_8
.LBB6_6:
                                        ; implicit-def: $sgpr16
	s_ashr_i32 s8, s18, 3
.LBB6_7:
	s_add_i32 s9, s14, -1
	s_mul_i32 s9, s9, s17
	s_add_i32 s16, s15, s9
.LBB6_8:
	s_abs_i32 s9, s10
	v_cvt_f32_u32_e32 v1, s9
	s_add_i32 s8, s16, s8
	s_sub_i32 s16, 0, s9
	s_abs_i32 s15, s8
	v_rcp_iflag_f32_e32 v1, v1
	s_xor_b32 s14, s8, s10
	s_ashr_i32 s14, s14, 31
	v_mul_f32_e32 v1, 0x4f7ffffe, v1
	v_cvt_u32_f32_e32 v1, v1
	v_readfirstlane_b32 s17, v1
	s_mul_i32 s16, s16, s17
	s_mul_hi_u32 s16, s17, s16
	s_add_i32 s17, s17, s16
	s_mul_hi_u32 s16, s15, s17
	s_mul_i32 s17, s16, s9
	s_sub_i32 s15, s15, s17
	s_add_i32 s18, s16, 1
	s_sub_i32 s17, s15, s9
	s_cmp_ge_u32 s15, s9
	s_cselect_b32 s16, s18, s16
	s_cselect_b32 s15, s17, s15
	s_add_i32 s17, s16, 1
	s_cmp_ge_u32 s15, s9
	s_cselect_b32 s9, s17, s16
	s_xor_b32 s9, s9, s14
	s_lshr_b32 s15, s11, 30
	s_sub_i32 s9, s9, s14
	s_add_i32 s15, s11, s15
	s_mul_i32 s14, s9, s10
	s_sub_i32 s8, s8, s14
	s_and_b32 s14, s15, -4
	s_sub_i32 s11, s11, s14
	s_cmp_ge_i32 s9, s14
	s_cselect_b32 s11, s11, 4
	s_abs_i32 s15, s11
	v_cvt_f32_u32_e32 v1, s15
	s_ashr_i32 s14, s9, 31
	s_lshr_b32 s14, s14, 30
	s_add_i32 s14, s9, s14
	v_rcp_iflag_f32_e32 v1, v1
	s_and_b32 s14, s14, -4
	s_sub_i32 s14, s9, s14
	s_sub_i32 s17, 0, s15
	v_mul_f32_e32 v1, 0x4f7ffffe, v1
	v_cvt_u32_f32_e32 v1, v1
	s_mul_i32 s10, s14, s10
	s_add_i32 s8, s10, s8
	s_abs_i32 s16, s8
	v_readfirstlane_b32 s18, v1
	s_mul_i32 s17, s17, s18
	s_mul_hi_u32 s17, s18, s17
	s_add_i32 s18, s18, s17
	s_mul_hi_u32 s17, s16, s18
	s_mul_i32 s18, s17, s15
	s_xor_b32 s10, s8, s11
	s_sub_i32 s16, s16, s18
	s_ashr_i32 s10, s10, 31
	s_add_i32 s18, s17, 1
	s_sub_i32 s19, s16, s15
	s_cmp_ge_u32 s16, s15
	s_cselect_b32 s17, s18, s17
	s_cselect_b32 s16, s19, s16
	s_add_i32 s18, s17, 1
	s_cmp_ge_u32 s16, s15
	s_cselect_b32 s15, s18, s17
	s_xor_b32 s15, s15, s10
	s_sub_i32 s10, s15, s10
	s_mul_i32 s11, s10, s11
	s_sub_i32 s8, s8, s11
	s_add_i32 s8, s8, s9
	s_sub_i32 s8, s8, s14
.LBB6_9:
	s_mov_b32 s9, s8
	s_mov_b32 s8, s10
.LBB6_10:
	s_lshl_b64 s[4:5], s[4:5], 1
	s_add_u32 s44, s6, s4
	v_lshrrev_b32_e32 v1, 1, v128
	s_addc_u32 s45, s7, s5
	s_lshl_b32 s29, s9, 5
	v_and_b32_e32 v3, 16, v1
	v_and_b32_e32 v6, 31, v128
	v_add_u32_e32 v7, s29, v3
	v_lshlrev_b32_e32 v2, 3, v6
	v_mad_u64_u32 v[4:5], s[6:7], v7, s39, v[2:3]
	buffer_store_dword v0, off, s[0:3], 0 offset:300
	buffer_store_dword v0, off, s[0:3], 0 offset:296
	;; [unrolled: 1-line block ×64, first 2 shown]
	buffer_store_short v0, off, s[0:3], 0 offset:304
	buffer_store_dword v0, off, s[0:3], 0 offset:444
	buffer_store_dword v0, off, s[0:3], 0 offset:440
	;; [unrolled: 1-line block ×32, first 2 shown]
	buffer_store_byte v0, off, s[0:3], 0 offset:448
	buffer_store_dword v0, off, s[0:3], 0 offset:476
	buffer_store_dword v0, off, s[0:3], 0 offset:472
	;; [unrolled: 1-line block ×64, first 2 shown]
	buffer_store_short v0, off, s[0:3], 0 offset:720
	buffer_store_dword v0, off, s[0:3], 0 offset:752
	buffer_store_dword v0, off, s[0:3], 0 offset:772
	;; [unrolled: 1-line block ×7, first 2 shown]
	v_xor_b32_e32 v2, v3, v6
	v_lshlrev_b32_e32 v4, 8, v3
	v_lshl_or_b32 v4, v2, 3, v4
	s_lshl_b32 s34, s8, 5
	buffer_store_dword v4, off, s[0:3], 0 offset:760
	buffer_store_dword v2, off, s[0:3], 0 offset:764
	buffer_store_dword v3, off, s[0:3], 0 offset:768
	buffer_store_dword v6, off, s[0:3], 0 offset:780
	buffer_store_dword v3, off, s[0:3], 0 offset:776
	buffer_store_dword v0, off, s[0:3], 0 offset:784
	buffer_store_dword v6, off, s[0:3], 0 offset:788
	buffer_store_dword v0, off, s[0:3], 0 offset:792
	buffer_store_dword v3, off, s[0:3], 0 offset:796
	buffer_store_dword v0, off, s[0:3], 0 offset:800
	buffer_store_dword v3, off, s[0:3], 0 offset:808
	buffer_store_dword v6, off, s[0:3], 0 offset:804
	buffer_store_dword v0, off, s[0:3], 0 offset:812
	buffer_store_dword v0, off, s[0:3], 0 offset:956
	buffer_store_dword v0, off, s[0:3], 0 offset:952
	buffer_store_dword v0, off, s[0:3], 0 offset:948
	buffer_store_dword v0, off, s[0:3], 0 offset:944
	buffer_store_dword v0, off, s[0:3], 0 offset:940
	buffer_store_dword v0, off, s[0:3], 0 offset:936
	buffer_store_dword v0, off, s[0:3], 0 offset:932
	buffer_store_dword v0, off, s[0:3], 0 offset:928
	buffer_store_dword v0, off, s[0:3], 0 offset:924
	buffer_store_dword v0, off, s[0:3], 0 offset:920
	buffer_store_dword v0, off, s[0:3], 0 offset:916
	buffer_store_dword v0, off, s[0:3], 0 offset:912
	buffer_store_dword v0, off, s[0:3], 0 offset:908
	buffer_store_dword v0, off, s[0:3], 0 offset:904
	buffer_store_dword v0, off, s[0:3], 0 offset:900
	buffer_store_dword v0, off, s[0:3], 0 offset:896
	buffer_store_dword v0, off, s[0:3], 0 offset:892
	buffer_store_dword v0, off, s[0:3], 0 offset:888
	buffer_store_dword v0, off, s[0:3], 0 offset:884
	buffer_store_dword v0, off, s[0:3], 0 offset:880
	buffer_store_dword v0, off, s[0:3], 0 offset:876
	buffer_store_dword v0, off, s[0:3], 0 offset:872
	buffer_store_dword v0, off, s[0:3], 0 offset:868
	buffer_store_dword v0, off, s[0:3], 0 offset:864
	buffer_store_dword v0, off, s[0:3], 0 offset:860
	buffer_store_dword v0, off, s[0:3], 0 offset:856
	buffer_store_dword v0, off, s[0:3], 0 offset:852
	buffer_store_dword v0, off, s[0:3], 0 offset:848
	buffer_store_dword v0, off, s[0:3], 0 offset:844
	buffer_store_dword v0, off, s[0:3], 0 offset:840
	buffer_store_dword v0, off, s[0:3], 0 offset:836
	buffer_store_dword v0, off, s[0:3], 0 offset:832
	buffer_store_short v0, off, s[0:3], 0 offset:960
	buffer_store_dword v0, off, s[0:3], 0 offset:988
	buffer_store_dword v0, off, s[0:3], 0 offset:984
	;; [unrolled: 1-line block ×32, first 2 shown]
	buffer_store_byte v0, off, s[0:3], 0 offset:1104
	buffer_store_dword v0, off, s[0:3], 0 offset:1244
	buffer_store_dword v0, off, s[0:3], 0 offset:1240
	;; [unrolled: 1-line block ×32, first 2 shown]
	buffer_store_short v0, off, s[0:3], 0 offset:1248
	buffer_store_dword v0, off, s[0:3], 0 offset:1280
	v_and_b32_e32 v129, 15, v128
	v_and_b32_e32 v3, 24, v1
	v_lshlrev_b32_e32 v2, 4, v129
	v_add_u32_e32 v6, s34, v3
	v_and_b32_e32 v1, 8, v1
	v_mad_u64_u32 v[4:5], s[6:7], v6, s40, v[2:3]
	s_mul_i32 s13, s13, s41
	s_mul_hi_u32 s35, s12, s41
	buffer_store_dword v0, off, s[0:3], 0 offset:1300
	buffer_store_dword v4, off, s[0:3], 0 offset:1264
	buffer_store_dword v6, off, s[0:3], 0 offset:1268
	buffer_store_dword v2, off, s[0:3], 0 offset:1272
	buffer_store_dword v129, off, s[0:3], 0 offset:1276
	v_xor_b32_e32 v1, v1, v129
	v_lshlrev_b32_e32 v2, 8, v3
	s_add_i32 s35, s35, s13
	v_lshl_or_b32 v2, v1, 4, v2
	s_mov_b64 s[6:7], src_shared_base
	buffer_store_dword v6, off, s[0:3], 0 offset:1284
	buffer_store_dword v2, off, s[0:3], 0 offset:1288
	;; [unrolled: 1-line block ×14, first 2 shown]
	v_mov_b32_e32 v1, s7
	s_getpc_b64 s[6:7]
	s_add_u32 s6, s6, __const._ZN2ck28GridwiseGemm_xdl_cshuffle_v3INS_13tensor_layout4gemm8RowMajorENS2_11ColumnMajorES3_DF16_NS_9f8_fnuz_tEfDF16_DF16_NS_16tensor_operation12element_wise11PassThroughES8_S8_LNS6_6device18GemmSpecializationE0ELi64ELi32ELi32ELi256ELi8ELi16ELi16ELi16ELi2ELi2ENS_8SequenceIJLi32ELi2ELi1EEEENSB_IJLi1ELi0ELi2EEEESD_Li2ELi8ELi8ELb0ELi0ENSB_IJLi16ELi4ELi1EEEESD_SD_Li2ELi16ELi16ELb0ELi0ELi1ELi1ENSB_IJLi1ELi16ELi1ELi4EEEELi4ELNS_26BlockGemmPipelineSchedulerE1ELNS_24BlockGemmPipelineVersionE0EDF16_DF16_Lb0ELb0ELb0ELi0ELb0EE3RunIKNS_16TensorDescriptorINS_5TupleIJNS_5EmbedINSL_IJiiEEENSL_IJiNS_17integral_constantIiLi1EEEEEELb0EEENS_7UnMergeISN_Lb0EEENS_11PassThroughIiEEEEENSL_IJNSB_IJLi0EEEENSB_IJLi2EEEENSB_IJLi1EEEEEEENSL_IJNSB_IJLi1ELi2EEEENSB_IJLi3ELi4EEEENSB_IJLi5EEEEEEENSB_IJLi3ELi5ELi4EEEElEES17_KNSK_INSL_IJSR_NS_8RightPadIiiLb0EEES19_NSS_INSL_IJiNSO_IiLi32EEEEEELb0EEES1C_EEENSL_IJSX_SZ_SY_NSB_IJLi3EEEENSB_IJLi4EEEEEEENSL_IJS11_S1E_S1F_NSB_IJLi5ELi6EEEENSB_IJLi7ELi8EEEEEEENSB_IJLi5ELi6ELi7ELi8EEEElEELb1ELNS_25InMemoryDataOperationEnumE0ELNS_10TailNumberE10EEEvPKDF16_PKS5_PDF16_PvRKNSI_7ProblemERKT_RKT0_RKT1_.a_block_slice_copy_step@rel32@lo+4
	s_addc_u32 s7, s7, __const._ZN2ck28GridwiseGemm_xdl_cshuffle_v3INS_13tensor_layout4gemm8RowMajorENS2_11ColumnMajorES3_DF16_NS_9f8_fnuz_tEfDF16_DF16_NS_16tensor_operation12element_wise11PassThroughES8_S8_LNS6_6device18GemmSpecializationE0ELi64ELi32ELi32ELi256ELi8ELi16ELi16ELi16ELi2ELi2ENS_8SequenceIJLi32ELi2ELi1EEEENSB_IJLi1ELi0ELi2EEEESD_Li2ELi8ELi8ELb0ELi0ENSB_IJLi16ELi4ELi1EEEESD_SD_Li2ELi16ELi16ELb0ELi0ELi1ELi1ENSB_IJLi1ELi16ELi1ELi4EEEELi4ELNS_26BlockGemmPipelineSchedulerE1ELNS_24BlockGemmPipelineVersionE0EDF16_DF16_Lb0ELb0ELb0ELi0ELb0EE3RunIKNS_16TensorDescriptorINS_5TupleIJNS_5EmbedINSL_IJiiEEENSL_IJiNS_17integral_constantIiLi1EEEEEELb0EEENS_7UnMergeISN_Lb0EEENS_11PassThroughIiEEEEENSL_IJNSB_IJLi0EEEENSB_IJLi2EEEENSB_IJLi1EEEEEEENSL_IJNSB_IJLi1ELi2EEEENSB_IJLi3ELi4EEEENSB_IJLi5EEEEEEENSB_IJLi3ELi5ELi4EEEElEES17_KNSK_INSL_IJSR_NS_8RightPadIiiLb0EEES19_NSS_INSL_IJiNSO_IiLi32EEEEEELb0EEES1C_EEENSL_IJSX_SZ_SY_NSB_IJLi3EEEENSB_IJLi4EEEEEEENSL_IJS11_S1E_S1F_NSB_IJLi5ELi6EEEENSB_IJLi7ELi8EEEEEEENSB_IJLi5ELi6ELi7ELi8EEEElEELb1ELNS_25InMemoryDataOperationEnumE0ELNS_10TailNumberE10EEEvPKDF16_PKS5_PDF16_PvRKNSI_7ProblemERKT_RKT0_RKT1_.a_block_slice_copy_step@rel32@hi+12
	s_load_dwordx2 s[6:7], s[6:7], 0x0
	s_getpc_b64 s[8:9]
	s_add_u32 s8, s8, __const._ZN2ck28GridwiseGemm_xdl_cshuffle_v3INS_13tensor_layout4gemm8RowMajorENS2_11ColumnMajorES3_DF16_NS_9f8_fnuz_tEfDF16_DF16_NS_16tensor_operation12element_wise11PassThroughES8_S8_LNS6_6device18GemmSpecializationE0ELi64ELi32ELi32ELi256ELi8ELi16ELi16ELi16ELi2ELi2ENS_8SequenceIJLi32ELi2ELi1EEEENSB_IJLi1ELi0ELi2EEEESD_Li2ELi8ELi8ELb0ELi0ENSB_IJLi16ELi4ELi1EEEESD_SD_Li2ELi16ELi16ELb0ELi0ELi1ELi1ENSB_IJLi1ELi16ELi1ELi4EEEELi4ELNS_26BlockGemmPipelineSchedulerE1ELNS_24BlockGemmPipelineVersionE0EDF16_DF16_Lb0ELb0ELb0ELi0ELb0EE3RunIKNS_16TensorDescriptorINS_5TupleIJNS_5EmbedINSL_IJiiEEENSL_IJiNS_17integral_constantIiLi1EEEEEELb0EEENS_7UnMergeISN_Lb0EEENS_11PassThroughIiEEEEENSL_IJNSB_IJLi0EEEENSB_IJLi2EEEENSB_IJLi1EEEEEEENSL_IJNSB_IJLi1ELi2EEEENSB_IJLi3ELi4EEEENSB_IJLi5EEEEEEENSB_IJLi3ELi5ELi4EEEElEES17_KNSK_INSL_IJSR_NS_8RightPadIiiLb0EEES19_NSS_INSL_IJiNSO_IiLi32EEEEEELb0EEES1C_EEENSL_IJSX_SZ_SY_NSB_IJLi3EEEENSB_IJLi4EEEEEEENSL_IJS11_S1E_S1F_NSB_IJLi5ELi6EEEENSB_IJLi7ELi8EEEEEEENSB_IJLi5ELi6ELi7ELi8EEEElEELb1ELNS_25InMemoryDataOperationEnumE0ELNS_10TailNumberE10EEEvPKDF16_PKS5_PDF16_PvRKNSI_7ProblemERKT_RKT0_RKT1_.b_block_slice_copy_step@rel32@lo+4
	s_addc_u32 s9, s9, __const._ZN2ck28GridwiseGemm_xdl_cshuffle_v3INS_13tensor_layout4gemm8RowMajorENS2_11ColumnMajorES3_DF16_NS_9f8_fnuz_tEfDF16_DF16_NS_16tensor_operation12element_wise11PassThroughES8_S8_LNS6_6device18GemmSpecializationE0ELi64ELi32ELi32ELi256ELi8ELi16ELi16ELi16ELi2ELi2ENS_8SequenceIJLi32ELi2ELi1EEEENSB_IJLi1ELi0ELi2EEEESD_Li2ELi8ELi8ELb0ELi0ENSB_IJLi16ELi4ELi1EEEESD_SD_Li2ELi16ELi16ELb0ELi0ELi1ELi1ENSB_IJLi1ELi16ELi1ELi4EEEELi4ELNS_26BlockGemmPipelineSchedulerE1ELNS_24BlockGemmPipelineVersionE0EDF16_DF16_Lb0ELb0ELb0ELi0ELb0EE3RunIKNS_16TensorDescriptorINS_5TupleIJNS_5EmbedINSL_IJiiEEENSL_IJiNS_17integral_constantIiLi1EEEEEELb0EEENS_7UnMergeISN_Lb0EEENS_11PassThroughIiEEEEENSL_IJNSB_IJLi0EEEENSB_IJLi2EEEENSB_IJLi1EEEEEEENSL_IJNSB_IJLi1ELi2EEEENSB_IJLi3ELi4EEEENSB_IJLi5EEEEEEENSB_IJLi3ELi5ELi4EEEElEES17_KNSK_INSL_IJSR_NS_8RightPadIiiLb0EEES19_NSS_INSL_IJiNSO_IiLi32EEEEEELb0EEES1C_EEENSL_IJSX_SZ_SY_NSB_IJLi3EEEENSB_IJLi4EEEEEEENSL_IJS11_S1E_S1F_NSB_IJLi5ELi6EEEENSB_IJLi7ELi8EEEEEEENSB_IJLi5ELi6ELi7ELi8EEEElEELb1ELNS_25InMemoryDataOperationEnumE0ELNS_10TailNumberE10EEEvPKDF16_PKS5_PDF16_PvRKNSI_7ProblemERKT_RKT0_RKT1_.b_block_slice_copy_step@rel32@hi+12
	s_load_dwordx2 s[8:9], s[8:9], 0x0
	buffer_store_dword v1, off, s[0:3], 0 offset:1364
	buffer_store_dword v0, off, s[0:3], 0 offset:1360
	buffer_store_short v0, off, s[0:3], 0 offset:1370
	buffer_store_dword v1, off, s[0:3], 0 offset:1380
	v_mov_b32_e32 v1, 0x4000
	buffer_store_dword v1, off, s[0:3], 0 offset:1376
	buffer_store_byte v0, off, s[0:3], 0 offset:1385
	s_waitcnt lgkmcnt(0)
	v_mov_b32_e32 v1, s7
	buffer_store_dword v1, off, s[0:3], 0 offset:1396
	v_mov_b32_e32 v1, s6
	v_lshlrev_b32_e32 v130, 2, v128
	buffer_store_dword v1, off, s[0:3], 0 offset:1392
	buffer_store_dword v0, off, s[0:3], 0 offset:1400
	v_mov_b32_e32 v1, s9
	v_and_b32_e32 v131, 0xc0, v130
	buffer_store_dword v1, off, s[0:3], 0 offset:1408
	v_mov_b32_e32 v1, s8
	v_lshrrev_b32_e32 v2, 3, v131
	buffer_store_dword v1, off, s[0:3], 0 offset:1404
	v_lshlrev_b32_e32 v1, 8, v129
	v_xor_b32_e32 v3, v2, v129
	buffer_store_dword v0, off, s[0:3], 0 offset:1412
	v_lshl_or_b32 v4, v3, 3, v1
	buffer_store_dword v0, off, s[0:3], 0 offset:1484
	buffer_store_dword v0, off, s[0:3], 0 offset:1480
	;; [unrolled: 1-line block ×28, first 2 shown]
	buffer_load_dword v5, off, s[0:3], 0 offset:1856
	buffer_load_dword v6, off, s[0:3], 0 offset:1860
	v_lshrrev_b32_e32 v7, 4, v131
	v_xor_b32_e32 v8, v7, v129
	v_lshl_or_b32 v1, v8, 4, v1
	buffer_store_dword v129, off, s[0:3], 0 offset:1536
	buffer_store_dword v0, off, s[0:3], 0 offset:1540
	;; [unrolled: 1-line block ×76, first 2 shown]
	s_mov_b64 s[4:5], src_private_base
	v_mov_b32_e32 v2, 0x730
	v_mov_b32_e32 v3, s5
	;; [unrolled: 1-line block ×20, first 2 shown]
	s_getpc_b64 s[6:7]
	s_add_u32 s6, s6, _ZNK2ck31BlockwiseGemmXdlops_pipeline_v1ILNS_26BlockGemmPipelineSchedulerE1ELi64EDF16_NS_9f8_fnuz_tEDF16_fNS_16TensorDescriptorINS_5TupleIJNS_5EmbedINS4_IJNS_17integral_constantIiLi32EEES7_NS6_IiLi8EEEEEENS4_IJS8_NS6_IiLi256EEENS6_IiLi1EEEEEELb0EEENS_3XorINS4_IJS7_S7_EEELb1EEENS_11PassThroughIS8_EENS_7UnMergeINS4_IJS7_SB_EEELb0EEENSH_IS7_EESI_SM_NS_21Merge_v3_division_modISK_EESI_EEENS4_IJNS_8SequenceIJLi0EEEENSQ_IJLi2ELi1EEEENSQ_IJLi3EEEENSQ_IJLi5EEEENSQ_IJLi4EEEENSQ_IJLi6EEEENSQ_IJLi7EEEENSQ_IJLi9ELi8EEEENSQ_IJLi10EEEEEEENS4_IJNSQ_IJLi1ELi2ELi3EEEENSQ_IJLi4ELi5EEEESW_NSQ_IJLi7ELi8EEEENSQ_IJLi9EEEESZ_NSQ_IJLi11EEEENSQ_IJLi12EEEENSQ_IJLi13EEEEEEENSQ_IJLi11ELi12ELi13EEEENS6_IlLl8192EEEEENS3_INS4_IJNS5_INS4_IJNS6_IiLi16EEES7_S1C_EEENS4_IJS1C_SA_SB_EEELb0EEENSE_INS4_IJS7_S1C_EEELb1EEENSH_IS1C_EENSJ_INS4_IJS1C_SB_EEELb0EEESM_S1I_S1I_SO_S1I_EEES10_S18_S19_S1A_EENS3_INS4_IJSD_SG_SI_SL_SM_SI_SM_SO_SI_NSN_INS4_IJS7_S8_EEEEENSJ_INS4_IJNS6_IiLi2EEESB_S1C_EEELb0EEEEEENS4_IJSR_SS_ST_SU_SV_SW_SX_SY_SZ_NSQ_IJLi11ELi13EEEES16_EEENS4_IJS11_S12_SW_S13_S14_SZ_S15_S16_S17_NSQ_IJLi14EEEENSQ_IJLi15ELi16ELi17EEEEEEENSQ_IJLi15ELi16ELi17ELi14EEEES1A_EENS3_INS4_IJS1F_S1H_S1I_S1K_SM_S1I_S1I_SO_S1I_NSN_INS4_IJS1C_S1C_EEEEES1R_EEES1U_S1X_S1Y_S1A_EELi8ELi16ELi32ELi32ELi256ELi16ELi16ELi2ELi2ELi16ELb0EE3RunILb1ELNS_10TailNumberE10ENS3_INS4_IJNS5_INS4_IJiiEEENS4_IJiSB_EEELb0EEENSJ_IS27_Lb0EEENSH_IiEEEEENS4_IJSR_NSQ_IJLi2EEEENSQ_IJLi1EEEEEEENS4_IJNSQ_IJLi1ELi2EEEENSQ_IJLi3ELi4EEEESU_EEENSQ_IJLi3ELi5ELi4EEEElEES1B_NS_35ThreadGroupTensorSliceTransfer_v4r1INS_15ThisThreadBlockILi64EEENS_16tensor_operation12element_wise11PassThroughES2Q_LNS_25InMemoryDataOperationEnumE0ENSQ_IJLi32ELi32ELi8EEEENSQ_IJLi32ELi2ELi1EEEENSQ_IJLi1ELi0ELi2EEEEDF16_DF16_RKS2K_KS1B_S2U_NSQ_IJLi0ELi1ELi2EEEELi2ELi2ELi8ELi8ELi1ELi1ELb0ELb1ELi1EiEENS_13DynamicBufferILNS_16AddressSpaceEnumE1EKDF16_lLb1ELNS_22AmdBufferCoherenceEnumE0EiEENS30_ILS31_2EDF16_S1A_Lb1ELS33_0EiEENS4_IJiiiEEES2K_S1M_NS2L_IS2N_S2Q_S2Q_LS2R_0ENSQ_IJLi16ELi32ELi16EEEENSQ_IJLi16ELi4ELi1EEEES2U_S2_S2_S2W_KS1M_S2U_S2Y_Li2ELi2ELi16ELi16ELi1ELi1ELb0ELb1ELi1EiEENS30_ILS31_1EKS2_lLb1ELS33_0EiEENS30_ILS31_2ES2_S1A_Lb1ELS33_0EiEES36_NS_25StaticBufferTupleOfVectorILS31_4EfLi4ELi4ELb1ELb0EEEEEvRKT1_RKT2_RT3_RKT4_RT5_RKT6_RKT7_RKT8_RT9_RKT10_RT11_RKT12_RT13_i@rel32@lo+4
	s_addc_u32 s7, s7, _ZNK2ck31BlockwiseGemmXdlops_pipeline_v1ILNS_26BlockGemmPipelineSchedulerE1ELi64EDF16_NS_9f8_fnuz_tEDF16_fNS_16TensorDescriptorINS_5TupleIJNS_5EmbedINS4_IJNS_17integral_constantIiLi32EEES7_NS6_IiLi8EEEEEENS4_IJS8_NS6_IiLi256EEENS6_IiLi1EEEEEELb0EEENS_3XorINS4_IJS7_S7_EEELb1EEENS_11PassThroughIS8_EENS_7UnMergeINS4_IJS7_SB_EEELb0EEENSH_IS7_EESI_SM_NS_21Merge_v3_division_modISK_EESI_EEENS4_IJNS_8SequenceIJLi0EEEENSQ_IJLi2ELi1EEEENSQ_IJLi3EEEENSQ_IJLi5EEEENSQ_IJLi4EEEENSQ_IJLi6EEEENSQ_IJLi7EEEENSQ_IJLi9ELi8EEEENSQ_IJLi10EEEEEEENS4_IJNSQ_IJLi1ELi2ELi3EEEENSQ_IJLi4ELi5EEEESW_NSQ_IJLi7ELi8EEEENSQ_IJLi9EEEESZ_NSQ_IJLi11EEEENSQ_IJLi12EEEENSQ_IJLi13EEEEEEENSQ_IJLi11ELi12ELi13EEEENS6_IlLl8192EEEEENS3_INS4_IJNS5_INS4_IJNS6_IiLi16EEES7_S1C_EEENS4_IJS1C_SA_SB_EEELb0EEENSE_INS4_IJS7_S1C_EEELb1EEENSH_IS1C_EENSJ_INS4_IJS1C_SB_EEELb0EEESM_S1I_S1I_SO_S1I_EEES10_S18_S19_S1A_EENS3_INS4_IJSD_SG_SI_SL_SM_SI_SM_SO_SI_NSN_INS4_IJS7_S8_EEEEENSJ_INS4_IJNS6_IiLi2EEESB_S1C_EEELb0EEEEEENS4_IJSR_SS_ST_SU_SV_SW_SX_SY_SZ_NSQ_IJLi11ELi13EEEES16_EEENS4_IJS11_S12_SW_S13_S14_SZ_S15_S16_S17_NSQ_IJLi14EEEENSQ_IJLi15ELi16ELi17EEEEEEENSQ_IJLi15ELi16ELi17ELi14EEEES1A_EENS3_INS4_IJS1F_S1H_S1I_S1K_SM_S1I_S1I_SO_S1I_NSN_INS4_IJS1C_S1C_EEEEES1R_EEES1U_S1X_S1Y_S1A_EELi8ELi16ELi32ELi32ELi256ELi16ELi16ELi2ELi2ELi16ELb0EE3RunILb1ELNS_10TailNumberE10ENS3_INS4_IJNS5_INS4_IJiiEEENS4_IJiSB_EEELb0EEENSJ_IS27_Lb0EEENSH_IiEEEEENS4_IJSR_NSQ_IJLi2EEEENSQ_IJLi1EEEEEEENS4_IJNSQ_IJLi1ELi2EEEENSQ_IJLi3ELi4EEEESU_EEENSQ_IJLi3ELi5ELi4EEEElEES1B_NS_35ThreadGroupTensorSliceTransfer_v4r1INS_15ThisThreadBlockILi64EEENS_16tensor_operation12element_wise11PassThroughES2Q_LNS_25InMemoryDataOperationEnumE0ENSQ_IJLi32ELi32ELi8EEEENSQ_IJLi32ELi2ELi1EEEENSQ_IJLi1ELi0ELi2EEEEDF16_DF16_RKS2K_KS1B_S2U_NSQ_IJLi0ELi1ELi2EEEELi2ELi2ELi8ELi8ELi1ELi1ELb0ELb1ELi1EiEENS_13DynamicBufferILNS_16AddressSpaceEnumE1EKDF16_lLb1ELNS_22AmdBufferCoherenceEnumE0EiEENS30_ILS31_2EDF16_S1A_Lb1ELS33_0EiEENS4_IJiiiEEES2K_S1M_NS2L_IS2N_S2Q_S2Q_LS2R_0ENSQ_IJLi16ELi32ELi16EEEENSQ_IJLi16ELi4ELi1EEEES2U_S2_S2_S2W_KS1M_S2U_S2Y_Li2ELi2ELi16ELi16ELi1ELi1ELb0ELb1ELi1EiEENS30_ILS31_1EKS2_lLb1ELS33_0EiEENS30_ILS31_2ES2_S1A_Lb1ELS33_0EiEES36_NS_25StaticBufferTupleOfVectorILS31_4EfLi4ELi4ELb1ELb0EEEEEvRKT1_RKT2_RT3_RKT4_RT5_RKT6_RKT7_RKT8_RT9_RKT10_RT11_RKT12_RT13_i@rel32@hi+12
	s_waitcnt vmcnt(62)
	v_mul_lo_u32 v0, v6, v5
	v_ashrrev_i32_e32 v1, 31, v0
	v_add_u32_sdwa v0, v0, v1 dst_sel:DWORD dst_unused:UNUSED_PAD src0_sel:DWORD src1_sel:BYTE_3
	v_ashrrev_i32_e32 v0, 8, v0
	v_readfirstlane_b32 s4, v0
	v_mov_b32_e32 v0, 0x590
	v_mov_b32_e32 v1, s5
	;; [unrolled: 1-line block ×5, first 2 shown]
	s_swappc_b64 s[30:31], s[6:7]
	s_waitcnt lgkmcnt(0)
	; wave barrier
	buffer_load_dword v1, off, s[0:3], 0 offset:1776
	buffer_load_dword v4, off, s[0:3], 0 offset:1780
	;; [unrolled: 1-line block ×4, first 2 shown]
	v_lshrrev_b32_e32 v7, 2, v128
	v_and_b32_e32 v3, 12, v130
	v_or_b32_e32 v2, v131, v129
	s_add_i32 s4, s37, s35
	v_or_b32_e32 v0, s34, v3
	v_or_b32_e32 v9, s29, v7
	v_lshlrev_b32_e32 v10, 1, v2
	v_lshlrev_b32_e32 v11, 1, v3
	s_lshl_b32 s46, s4, 1
	v_cmp_gt_i32_e32 vcc, s37, v0
	v_bfrev_b32_e32 v8, 1
	s_mov_b32 s47, 0x20000
	s_lshl_b32 s8, s41, 4
	s_waitcnt vmcnt(3)
	v_mad_u64_u32 v[2:3], s[4:5], v9, s41, v[0:1]
	v_cvt_f16_f32_e32 v1, v1
	s_waitcnt vmcnt(2)
	v_cvt_f16_f32_e32 v4, v4
	s_waitcnt vmcnt(1)
	v_cvt_f16_f32_e32 v5, v5
	v_lshl_or_b32 v3, v7, 5, v11
	s_waitcnt vmcnt(0)
	v_cvt_f16_f32_e32 v6, v6
	ds_write_b16 v10, v1
	ds_write_b16 v10, v4 offset:32
	ds_write_b16 v10, v5 offset:64
	;; [unrolled: 1-line block ×3, first 2 shown]
	s_waitcnt lgkmcnt(0)
	; wave barrier
	ds_read_b64 v[4:5], v3
	v_cmp_gt_i32_e64 s[4:5], s36, v9
	s_and_b64 s[6:7], s[4:5], vcc
	v_cndmask_b32_e64 v1, v8, 0, s[6:7]
	v_lshl_add_u32 v1, v2, 1, v1
	s_waitcnt lgkmcnt(0)
	buffer_store_dwordx2 v[4:5], v1, s[44:47], 0 offen
	s_waitcnt lgkmcnt(0)
	; wave barrier
	buffer_load_dword v1, off, s[0:3], 0 offset:1792
	buffer_load_dword v4, off, s[0:3], 0 offset:1796
	;; [unrolled: 1-line block ×4, first 2 shown]
	v_or_b32_e32 v7, 16, v0
	v_cmp_gt_i32_e64 s[6:7], s37, v7
	s_and_b64 s[4:5], s[4:5], s[6:7]
	v_add_u32_e32 v11, 16, v2
	v_add_u32_e32 v2, s8, v2
	s_waitcnt vmcnt(3)
	v_cvt_f16_f32_e32 v0, v1
	s_waitcnt vmcnt(2)
	v_cvt_f16_f32_e32 v1, v4
	;; [unrolled: 2-line block ×4, first 2 shown]
	ds_write_b16 v10, v0
	ds_write_b16 v10, v1 offset:32
	ds_write_b16 v10, v4 offset:64
	;; [unrolled: 1-line block ×3, first 2 shown]
	s_waitcnt lgkmcnt(0)
	; wave barrier
	ds_read_b64 v[0:1], v3
	v_cndmask_b32_e64 v4, v8, 0, s[4:5]
	v_lshl_add_u32 v4, v11, 1, v4
	v_or_b32_e32 v6, 16, v9
	v_cmp_gt_i32_e64 s[4:5], s36, v6
	s_waitcnt lgkmcnt(0)
	buffer_store_dwordx2 v[0:1], v4, s[44:47], 0 offen
	s_waitcnt lgkmcnt(0)
	; wave barrier
	buffer_load_dword v0, off, s[0:3], 0 offset:1824
	buffer_load_dword v1, off, s[0:3], 0 offset:1828
	;; [unrolled: 1-line block ×4, first 2 shown]
	s_and_b64 s[6:7], s[4:5], s[6:7]
	s_and_b64 s[4:5], vcc, s[4:5]
	s_waitcnt vmcnt(3)
	v_cvt_f16_f32_e32 v0, v0
	s_waitcnt vmcnt(2)
	v_cvt_f16_f32_e32 v1, v1
	s_waitcnt vmcnt(1)
	v_cvt_f16_f32_e32 v4, v4
	s_waitcnt vmcnt(0)
	v_cvt_f16_f32_e32 v5, v5
	ds_write_b16 v10, v0
	ds_write_b16 v10, v1 offset:32
	ds_write_b16 v10, v4 offset:64
	;; [unrolled: 1-line block ×3, first 2 shown]
	s_waitcnt lgkmcnt(0)
	; wave barrier
	ds_read_b64 v[0:1], v3
	v_add_u32_e32 v4, s8, v11
	v_cndmask_b32_e64 v5, v8, 0, s[6:7]
	v_lshl_add_u32 v4, v4, 1, v5
	s_waitcnt lgkmcnt(0)
	buffer_store_dwordx2 v[0:1], v4, s[44:47], 0 offen
	s_waitcnt lgkmcnt(0)
	; wave barrier
	buffer_load_dword v0, off, s[0:3], 0 offset:1808
	buffer_load_dword v1, off, s[0:3], 0 offset:1812
	;; [unrolled: 1-line block ×4, first 2 shown]
	s_waitcnt vmcnt(3)
	v_cvt_f16_f32_e32 v0, v0
	s_waitcnt vmcnt(2)
	v_cvt_f16_f32_e32 v1, v1
	s_waitcnt vmcnt(1)
	v_cvt_f16_f32_e32 v4, v4
	s_waitcnt vmcnt(0)
	v_cvt_f16_f32_e32 v5, v5
	ds_write_b16 v10, v0
	ds_write_b16 v10, v1 offset:32
	ds_write_b16 v10, v4 offset:64
	;; [unrolled: 1-line block ×3, first 2 shown]
	s_waitcnt lgkmcnt(0)
	; wave barrier
	ds_read_b64 v[0:1], v3
	v_cndmask_b32_e64 v3, v8, 0, s[4:5]
	v_lshl_add_u32 v2, v2, 1, v3
	s_waitcnt lgkmcnt(0)
	buffer_store_dwordx2 v[0:1], v2, s[44:47], 0 offen
	s_endpgm
	.section	.rodata,"a",@progbits
	.p2align	6, 0x0
	.amdhsa_kernel _ZN2ck27kernel_gemm_xdl_cshuffle_v3INS_28GridwiseGemm_xdl_cshuffle_v3INS_13tensor_layout4gemm8RowMajorENS3_11ColumnMajorES4_DF16_NS_9f8_fnuz_tEfDF16_DF16_NS_16tensor_operation12element_wise11PassThroughES9_S9_LNS7_6device18GemmSpecializationE0ELi64ELi32ELi32ELi256ELi8ELi16ELi16ELi16ELi2ELi2ENS_8SequenceIJLi32ELi2ELi1EEEENSC_IJLi1ELi0ELi2EEEESE_Li2ELi8ELi8ELb0ELi0ENSC_IJLi16ELi4ELi1EEEESE_SE_Li2ELi16ELi16ELb0ELi0ELi1ELi1ENSC_IJLi1ELi16ELi1ELi4EEEELi4ELNS_26BlockGemmPipelineSchedulerE1ELNS_24BlockGemmPipelineVersionE0EDF16_DF16_Lb0ELb0ELb0ELi0ELb0EEELb1ELNS_25InMemoryDataOperationEnumE0ELi2ELNS_10TailNumberE10EEEvNT_8ArgumentE
		.amdhsa_group_segment_fixed_size 24576
		.amdhsa_private_segment_fixed_size 2224
		.amdhsa_kernarg_size 112
		.amdhsa_user_sgpr_count 8
		.amdhsa_user_sgpr_private_segment_buffer 1
		.amdhsa_user_sgpr_dispatch_ptr 0
		.amdhsa_user_sgpr_queue_ptr 0
		.amdhsa_user_sgpr_kernarg_segment_ptr 1
		.amdhsa_user_sgpr_dispatch_id 0
		.amdhsa_user_sgpr_flat_scratch_init 1
		.amdhsa_user_sgpr_kernarg_preload_length 0
		.amdhsa_user_sgpr_kernarg_preload_offset 0
		.amdhsa_user_sgpr_private_segment_size 0
		.amdhsa_uses_dynamic_stack 0
		.amdhsa_system_sgpr_private_segment_wavefront_offset 1
		.amdhsa_system_sgpr_workgroup_id_x 1
		.amdhsa_system_sgpr_workgroup_id_y 0
		.amdhsa_system_sgpr_workgroup_id_z 1
		.amdhsa_system_sgpr_workgroup_info 0
		.amdhsa_system_vgpr_workitem_id 0
		.amdhsa_next_free_vgpr 168
		.amdhsa_next_free_sgpr 48
		.amdhsa_accum_offset 132
		.amdhsa_reserve_vcc 1
		.amdhsa_reserve_flat_scratch 1
		.amdhsa_float_round_mode_32 0
		.amdhsa_float_round_mode_16_64 0
		.amdhsa_float_denorm_mode_32 3
		.amdhsa_float_denorm_mode_16_64 3
		.amdhsa_dx10_clamp 1
		.amdhsa_ieee_mode 1
		.amdhsa_fp16_overflow 0
		.amdhsa_tg_split 0
		.amdhsa_exception_fp_ieee_invalid_op 0
		.amdhsa_exception_fp_denorm_src 0
		.amdhsa_exception_fp_ieee_div_zero 0
		.amdhsa_exception_fp_ieee_overflow 0
		.amdhsa_exception_fp_ieee_underflow 0
		.amdhsa_exception_fp_ieee_inexact 0
		.amdhsa_exception_int_div_zero 0
	.end_amdhsa_kernel
	.section	.text._ZN2ck27kernel_gemm_xdl_cshuffle_v3INS_28GridwiseGemm_xdl_cshuffle_v3INS_13tensor_layout4gemm8RowMajorENS3_11ColumnMajorES4_DF16_NS_9f8_fnuz_tEfDF16_DF16_NS_16tensor_operation12element_wise11PassThroughES9_S9_LNS7_6device18GemmSpecializationE0ELi64ELi32ELi32ELi256ELi8ELi16ELi16ELi16ELi2ELi2ENS_8SequenceIJLi32ELi2ELi1EEEENSC_IJLi1ELi0ELi2EEEESE_Li2ELi8ELi8ELb0ELi0ENSC_IJLi16ELi4ELi1EEEESE_SE_Li2ELi16ELi16ELb0ELi0ELi1ELi1ENSC_IJLi1ELi16ELi1ELi4EEEELi4ELNS_26BlockGemmPipelineSchedulerE1ELNS_24BlockGemmPipelineVersionE0EDF16_DF16_Lb0ELb0ELb0ELi0ELb0EEELb1ELNS_25InMemoryDataOperationEnumE0ELi2ELNS_10TailNumberE10EEEvNT_8ArgumentE,"axG",@progbits,_ZN2ck27kernel_gemm_xdl_cshuffle_v3INS_28GridwiseGemm_xdl_cshuffle_v3INS_13tensor_layout4gemm8RowMajorENS3_11ColumnMajorES4_DF16_NS_9f8_fnuz_tEfDF16_DF16_NS_16tensor_operation12element_wise11PassThroughES9_S9_LNS7_6device18GemmSpecializationE0ELi64ELi32ELi32ELi256ELi8ELi16ELi16ELi16ELi2ELi2ENS_8SequenceIJLi32ELi2ELi1EEEENSC_IJLi1ELi0ELi2EEEESE_Li2ELi8ELi8ELb0ELi0ENSC_IJLi16ELi4ELi1EEEESE_SE_Li2ELi16ELi16ELb0ELi0ELi1ELi1ENSC_IJLi1ELi16ELi1ELi4EEEELi4ELNS_26BlockGemmPipelineSchedulerE1ELNS_24BlockGemmPipelineVersionE0EDF16_DF16_Lb0ELb0ELb0ELi0ELb0EEELb1ELNS_25InMemoryDataOperationEnumE0ELi2ELNS_10TailNumberE10EEEvNT_8ArgumentE,comdat
.Lfunc_end6:
	.size	_ZN2ck27kernel_gemm_xdl_cshuffle_v3INS_28GridwiseGemm_xdl_cshuffle_v3INS_13tensor_layout4gemm8RowMajorENS3_11ColumnMajorES4_DF16_NS_9f8_fnuz_tEfDF16_DF16_NS_16tensor_operation12element_wise11PassThroughES9_S9_LNS7_6device18GemmSpecializationE0ELi64ELi32ELi32ELi256ELi8ELi16ELi16ELi16ELi2ELi2ENS_8SequenceIJLi32ELi2ELi1EEEENSC_IJLi1ELi0ELi2EEEESE_Li2ELi8ELi8ELb0ELi0ENSC_IJLi16ELi4ELi1EEEESE_SE_Li2ELi16ELi16ELb0ELi0ELi1ELi1ENSC_IJLi1ELi16ELi1ELi4EEEELi4ELNS_26BlockGemmPipelineSchedulerE1ELNS_24BlockGemmPipelineVersionE0EDF16_DF16_Lb0ELb0ELb0ELi0ELb0EEELb1ELNS_25InMemoryDataOperationEnumE0ELi2ELNS_10TailNumberE10EEEvNT_8ArgumentE, .Lfunc_end6-_ZN2ck27kernel_gemm_xdl_cshuffle_v3INS_28GridwiseGemm_xdl_cshuffle_v3INS_13tensor_layout4gemm8RowMajorENS3_11ColumnMajorES4_DF16_NS_9f8_fnuz_tEfDF16_DF16_NS_16tensor_operation12element_wise11PassThroughES9_S9_LNS7_6device18GemmSpecializationE0ELi64ELi32ELi32ELi256ELi8ELi16ELi16ELi16ELi2ELi2ENS_8SequenceIJLi32ELi2ELi1EEEENSC_IJLi1ELi0ELi2EEEESE_Li2ELi8ELi8ELb0ELi0ENSC_IJLi16ELi4ELi1EEEESE_SE_Li2ELi16ELi16ELb0ELi0ELi1ELi1ENSC_IJLi1ELi16ELi1ELi4EEEELi4ELNS_26BlockGemmPipelineSchedulerE1ELNS_24BlockGemmPipelineVersionE0EDF16_DF16_Lb0ELb0ELb0ELi0ELb0EEELb1ELNS_25InMemoryDataOperationEnumE0ELi2ELNS_10TailNumberE10EEEvNT_8ArgumentE
                                        ; -- End function
	.section	.AMDGPU.csdata,"",@progbits
; Kernel info:
; codeLenInByte = 5560
; NumSgprs: 54
; NumVgprs: 132
; NumAgprs: 36
; TotalNumVgprs: 168
; ScratchSize: 2224
; MemoryBound: 0
; FloatMode: 240
; IeeeMode: 1
; LDSByteSize: 24576 bytes/workgroup (compile time only)
; SGPRBlocks: 6
; VGPRBlocks: 20
; NumSGPRsForWavesPerEU: 54
; NumVGPRsForWavesPerEU: 168
; AccumOffset: 132
; Occupancy: 1
; WaveLimiterHint : 1
; COMPUTE_PGM_RSRC2:SCRATCH_EN: 1
; COMPUTE_PGM_RSRC2:USER_SGPR: 8
; COMPUTE_PGM_RSRC2:TRAP_HANDLER: 0
; COMPUTE_PGM_RSRC2:TGID_X_EN: 1
; COMPUTE_PGM_RSRC2:TGID_Y_EN: 0
; COMPUTE_PGM_RSRC2:TGID_Z_EN: 1
; COMPUTE_PGM_RSRC2:TIDIG_COMP_CNT: 0
; COMPUTE_PGM_RSRC3_GFX90A:ACCUM_OFFSET: 32
; COMPUTE_PGM_RSRC3_GFX90A:TG_SPLIT: 0
	.section	.text._ZN2ck27kernel_gemm_xdl_cshuffle_v3INS_28GridwiseGemm_xdl_cshuffle_v3INS_13tensor_layout4gemm8RowMajorENS3_11ColumnMajorES4_DF16_NS_9f8_fnuz_tEfDF16_DF16_NS_16tensor_operation12element_wise11PassThroughES9_S9_LNS7_6device18GemmSpecializationE0ELi64ELi32ELi32ELi256ELi8ELi16ELi16ELi16ELi2ELi2ENS_8SequenceIJLi32ELi2ELi1EEEENSC_IJLi1ELi0ELi2EEEESE_Li2ELi8ELi8ELb0ELi0ENSC_IJLi16ELi4ELi1EEEESE_SE_Li2ELi16ELi16ELb0ELi0ELi1ELi1ENSC_IJLi1ELi16ELi1ELi4EEEELi4ELNS_26BlockGemmPipelineSchedulerE1ELNS_24BlockGemmPipelineVersionE0EDF16_DF16_Lb0ELb0ELb0ELi0ELb0EEELb0ELNS_25InMemoryDataOperationEnumE1ELi2ELNS_10TailNumberE10EEEvNT_8ArgumentE,"axG",@progbits,_ZN2ck27kernel_gemm_xdl_cshuffle_v3INS_28GridwiseGemm_xdl_cshuffle_v3INS_13tensor_layout4gemm8RowMajorENS3_11ColumnMajorES4_DF16_NS_9f8_fnuz_tEfDF16_DF16_NS_16tensor_operation12element_wise11PassThroughES9_S9_LNS7_6device18GemmSpecializationE0ELi64ELi32ELi32ELi256ELi8ELi16ELi16ELi16ELi2ELi2ENS_8SequenceIJLi32ELi2ELi1EEEENSC_IJLi1ELi0ELi2EEEESE_Li2ELi8ELi8ELb0ELi0ENSC_IJLi16ELi4ELi1EEEESE_SE_Li2ELi16ELi16ELb0ELi0ELi1ELi1ENSC_IJLi1ELi16ELi1ELi4EEEELi4ELNS_26BlockGemmPipelineSchedulerE1ELNS_24BlockGemmPipelineVersionE0EDF16_DF16_Lb0ELb0ELb0ELi0ELb0EEELb0ELNS_25InMemoryDataOperationEnumE1ELi2ELNS_10TailNumberE10EEEvNT_8ArgumentE,comdat
	.protected	_ZN2ck27kernel_gemm_xdl_cshuffle_v3INS_28GridwiseGemm_xdl_cshuffle_v3INS_13tensor_layout4gemm8RowMajorENS3_11ColumnMajorES4_DF16_NS_9f8_fnuz_tEfDF16_DF16_NS_16tensor_operation12element_wise11PassThroughES9_S9_LNS7_6device18GemmSpecializationE0ELi64ELi32ELi32ELi256ELi8ELi16ELi16ELi16ELi2ELi2ENS_8SequenceIJLi32ELi2ELi1EEEENSC_IJLi1ELi0ELi2EEEESE_Li2ELi8ELi8ELb0ELi0ENSC_IJLi16ELi4ELi1EEEESE_SE_Li2ELi16ELi16ELb0ELi0ELi1ELi1ENSC_IJLi1ELi16ELi1ELi4EEEELi4ELNS_26BlockGemmPipelineSchedulerE1ELNS_24BlockGemmPipelineVersionE0EDF16_DF16_Lb0ELb0ELb0ELi0ELb0EEELb0ELNS_25InMemoryDataOperationEnumE1ELi2ELNS_10TailNumberE10EEEvNT_8ArgumentE ; -- Begin function _ZN2ck27kernel_gemm_xdl_cshuffle_v3INS_28GridwiseGemm_xdl_cshuffle_v3INS_13tensor_layout4gemm8RowMajorENS3_11ColumnMajorES4_DF16_NS_9f8_fnuz_tEfDF16_DF16_NS_16tensor_operation12element_wise11PassThroughES9_S9_LNS7_6device18GemmSpecializationE0ELi64ELi32ELi32ELi256ELi8ELi16ELi16ELi16ELi2ELi2ENS_8SequenceIJLi32ELi2ELi1EEEENSC_IJLi1ELi0ELi2EEEESE_Li2ELi8ELi8ELb0ELi0ENSC_IJLi16ELi4ELi1EEEESE_SE_Li2ELi16ELi16ELb0ELi0ELi1ELi1ENSC_IJLi1ELi16ELi1ELi4EEEELi4ELNS_26BlockGemmPipelineSchedulerE1ELNS_24BlockGemmPipelineVersionE0EDF16_DF16_Lb0ELb0ELb0ELi0ELb0EEELb0ELNS_25InMemoryDataOperationEnumE1ELi2ELNS_10TailNumberE10EEEvNT_8ArgumentE
	.globl	_ZN2ck27kernel_gemm_xdl_cshuffle_v3INS_28GridwiseGemm_xdl_cshuffle_v3INS_13tensor_layout4gemm8RowMajorENS3_11ColumnMajorES4_DF16_NS_9f8_fnuz_tEfDF16_DF16_NS_16tensor_operation12element_wise11PassThroughES9_S9_LNS7_6device18GemmSpecializationE0ELi64ELi32ELi32ELi256ELi8ELi16ELi16ELi16ELi2ELi2ENS_8SequenceIJLi32ELi2ELi1EEEENSC_IJLi1ELi0ELi2EEEESE_Li2ELi8ELi8ELb0ELi0ENSC_IJLi16ELi4ELi1EEEESE_SE_Li2ELi16ELi16ELb0ELi0ELi1ELi1ENSC_IJLi1ELi16ELi1ELi4EEEELi4ELNS_26BlockGemmPipelineSchedulerE1ELNS_24BlockGemmPipelineVersionE0EDF16_DF16_Lb0ELb0ELb0ELi0ELb0EEELb0ELNS_25InMemoryDataOperationEnumE1ELi2ELNS_10TailNumberE10EEEvNT_8ArgumentE
	.p2align	8
	.type	_ZN2ck27kernel_gemm_xdl_cshuffle_v3INS_28GridwiseGemm_xdl_cshuffle_v3INS_13tensor_layout4gemm8RowMajorENS3_11ColumnMajorES4_DF16_NS_9f8_fnuz_tEfDF16_DF16_NS_16tensor_operation12element_wise11PassThroughES9_S9_LNS7_6device18GemmSpecializationE0ELi64ELi32ELi32ELi256ELi8ELi16ELi16ELi16ELi2ELi2ENS_8SequenceIJLi32ELi2ELi1EEEENSC_IJLi1ELi0ELi2EEEESE_Li2ELi8ELi8ELb0ELi0ENSC_IJLi16ELi4ELi1EEEESE_SE_Li2ELi16ELi16ELb0ELi0ELi1ELi1ENSC_IJLi1ELi16ELi1ELi4EEEELi4ELNS_26BlockGemmPipelineSchedulerE1ELNS_24BlockGemmPipelineVersionE0EDF16_DF16_Lb0ELb0ELb0ELi0ELb0EEELb0ELNS_25InMemoryDataOperationEnumE1ELi2ELNS_10TailNumberE10EEEvNT_8ArgumentE,@function
_ZN2ck27kernel_gemm_xdl_cshuffle_v3INS_28GridwiseGemm_xdl_cshuffle_v3INS_13tensor_layout4gemm8RowMajorENS3_11ColumnMajorES4_DF16_NS_9f8_fnuz_tEfDF16_DF16_NS_16tensor_operation12element_wise11PassThroughES9_S9_LNS7_6device18GemmSpecializationE0ELi64ELi32ELi32ELi256ELi8ELi16ELi16ELi16ELi2ELi2ENS_8SequenceIJLi32ELi2ELi1EEEENSC_IJLi1ELi0ELi2EEEESE_Li2ELi8ELi8ELb0ELi0ENSC_IJLi16ELi4ELi1EEEESE_SE_Li2ELi16ELi16ELb0ELi0ELi1ELi1ENSC_IJLi1ELi16ELi1ELi4EEEELi4ELNS_26BlockGemmPipelineSchedulerE1ELNS_24BlockGemmPipelineVersionE0EDF16_DF16_Lb0ELb0ELb0ELi0ELb0EEELb0ELNS_25InMemoryDataOperationEnumE1ELi2ELNS_10TailNumberE10EEEvNT_8ArgumentE: ; @_ZN2ck27kernel_gemm_xdl_cshuffle_v3INS_28GridwiseGemm_xdl_cshuffle_v3INS_13tensor_layout4gemm8RowMajorENS3_11ColumnMajorES4_DF16_NS_9f8_fnuz_tEfDF16_DF16_NS_16tensor_operation12element_wise11PassThroughES9_S9_LNS7_6device18GemmSpecializationE0ELi64ELi32ELi32ELi256ELi8ELi16ELi16ELi16ELi2ELi2ENS_8SequenceIJLi32ELi2ELi1EEEENSC_IJLi1ELi0ELi2EEEESE_Li2ELi8ELi8ELb0ELi0ENSC_IJLi16ELi4ELi1EEEESE_SE_Li2ELi16ELi16ELb0ELi0ELi1ELi1ENSC_IJLi1ELi16ELi1ELi4EEEELi4ELNS_26BlockGemmPipelineSchedulerE1ELNS_24BlockGemmPipelineVersionE0EDF16_DF16_Lb0ELb0ELb0ELi0ELb0EEELb0ELNS_25InMemoryDataOperationEnumE1ELi2ELNS_10TailNumberE10EEEvNT_8ArgumentE
; %bb.0:
	s_load_dwordx8 s[8:15], s[4:5], 0x10
	s_waitcnt lgkmcnt(0)
	s_load_dword s15, s[4:5], 0x68
	s_load_dwordx2 s[20:21], s[4:5], 0x60
	s_load_dwordx4 s[0:3], s[4:5], 0x50
	s_mov_b32 s22, 0
	s_cmp_gt_i32 s14, 1
	s_cselect_b64 s[16:17], -1, 0
	s_waitcnt lgkmcnt(0)
	s_bitcmp1_b32 s15, 0
	s_cselect_b64 s[18:19], -1, 0
	s_and_b64 s[16:17], s[16:17], s[18:19]
	s_mov_b32 s15, 0
	s_andn2_b64 vcc, exec, s[16:17]
	s_cbranch_vccnz .LBB7_2
; %bb.1:
	s_mul_i32 s16, s8, s7
	s_mul_i32 s22, s16, s9
.LBB7_2:
	s_load_dword s18, s[4:5], 0x34
	s_add_i32 s4, s8, -1
	s_cmp_lt_u32 s4, 32
	s_cbranch_scc1 .LBB7_10
; %bb.3:
	s_add_i32 s4, s9, -1
	s_cmp_lt_u32 s4, 32
	s_mov_b32 s4, 0
	s_cbranch_scc1 .LBB7_9
; %bb.4:
	s_add_i32 s4, s8, 31
	s_ashr_i32 s5, s4, 31
	s_lshr_b32 s5, s5, 27
	s_add_i32 s4, s4, s5
	s_ashr_i32 s16, s4, 5
	s_add_i32 s4, s9, 31
	s_ashr_i32 s5, s4, 31
	s_lshr_b32 s5, s5, 27
	s_add_i32 s4, s4, s5
	s_ashr_i32 s15, s4, 5
	s_mul_i32 s4, s15, s16
	s_add_i32 s5, s4, 7
	s_ashr_i32 s17, s5, 31
	s_lshr_b32 s17, s17, 29
	s_add_i32 s5, s5, s17
	s_ashr_i32 s17, s5, 3
	s_and_b32 s5, s5, -8
	s_sub_i32 s19, s4, s5
	s_ashr_i32 s4, s6, 31
	s_lshr_b32 s4, s4, 29
	s_add_i32 s24, s6, s4
	s_and_b32 s4, s24, -8
	s_add_i32 s19, s19, 8
	s_sub_i32 s23, s6, s4
	s_cmp_gt_i32 s23, s19
	s_cbranch_scc1 .LBB7_6
; %bb.5:
	s_mul_i32 s6, s17, s23
	s_ashr_i32 s4, s24, 3
	s_cbranch_execz .LBB7_7
	s_branch .LBB7_8
.LBB7_6:
                                        ; implicit-def: $sgpr6
	s_ashr_i32 s4, s24, 3
.LBB7_7:
	s_add_i32 s5, s17, -1
	s_mul_i32 s5, s5, s23
	s_add_i32 s6, s19, s5
.LBB7_8:
	s_abs_i32 s5, s15
	v_cvt_f32_u32_e32 v1, s5
	s_sub_i32 s19, 0, s5
	s_add_i32 s4, s6, s4
	s_abs_i32 s17, s4
	v_rcp_iflag_f32_e32 v1, v1
	s_xor_b32 s6, s4, s15
	s_ashr_i32 s6, s6, 31
	v_mul_f32_e32 v1, 0x4f7ffffe, v1
	v_cvt_u32_f32_e32 v1, v1
	v_readfirstlane_b32 s23, v1
	s_mul_i32 s19, s19, s23
	s_mul_hi_u32 s19, s23, s19
	s_add_i32 s23, s23, s19
	s_mul_hi_u32 s19, s17, s23
	s_mul_i32 s23, s19, s5
	s_sub_i32 s17, s17, s23
	s_add_i32 s24, s19, 1
	s_sub_i32 s23, s17, s5
	s_cmp_ge_u32 s17, s5
	s_cselect_b32 s19, s24, s19
	s_cselect_b32 s17, s23, s17
	s_add_i32 s23, s19, 1
	s_cmp_ge_u32 s17, s5
	s_cselect_b32 s5, s23, s19
	s_xor_b32 s5, s5, s6
	s_lshr_b32 s17, s16, 30
	s_sub_i32 s5, s5, s6
	s_add_i32 s17, s16, s17
	s_mul_i32 s6, s5, s15
	s_sub_i32 s4, s4, s6
	s_and_b32 s6, s17, -4
	s_sub_i32 s16, s16, s6
	s_cmp_ge_i32 s5, s6
	s_cselect_b32 s6, s16, 4
	s_abs_i32 s17, s6
	v_cvt_f32_u32_e32 v1, s17
	s_ashr_i32 s16, s5, 31
	s_lshr_b32 s16, s16, 30
	s_add_i32 s16, s5, s16
	v_rcp_iflag_f32_e32 v1, v1
	s_and_b32 s16, s16, -4
	s_sub_i32 s16, s5, s16
	s_sub_i32 s23, 0, s17
	v_mul_f32_e32 v1, 0x4f7ffffe, v1
	v_cvt_u32_f32_e32 v1, v1
	s_mul_i32 s15, s16, s15
	s_add_i32 s15, s15, s4
	s_abs_i32 s19, s15
	v_readfirstlane_b32 s24, v1
	s_mul_i32 s23, s23, s24
	s_mul_hi_u32 s23, s24, s23
	s_add_i32 s24, s24, s23
	s_mul_hi_u32 s23, s19, s24
	s_mul_i32 s24, s23, s17
	s_xor_b32 s4, s15, s6
	s_sub_i32 s19, s19, s24
	s_ashr_i32 s4, s4, 31
	s_add_i32 s24, s23, 1
	s_sub_i32 s25, s19, s17
	s_cmp_ge_u32 s19, s17
	s_cselect_b32 s23, s24, s23
	s_cselect_b32 s19, s25, s19
	s_add_i32 s24, s23, 1
	s_cmp_ge_u32 s19, s17
	s_cselect_b32 s17, s24, s23
	s_xor_b32 s17, s17, s4
	s_sub_i32 s4, s17, s4
	s_mul_i32 s6, s4, s6
	s_sub_i32 s6, s15, s6
	s_add_i32 s6, s6, s5
	s_sub_i32 s6, s6, s16
.LBB7_9:
	s_mov_b32 s15, s6
	s_mov_b32 s6, s4
.LBB7_10:
	s_waitcnt lgkmcnt(0)
	s_mul_i32 s4, s18, s7
	s_ashr_i32 s5, s4, 31
	s_lshl_b64 s[16:17], s[4:5], 1
	s_add_u32 s16, s0, s16
	s_addc_u32 s17, s1, s17
	s_add_u32 s0, s2, s4
	s_addc_u32 s1, s3, s5
	s_add_u32 s24, 0, 0
	s_addc_u32 s25, s8, -1
	s_add_u32 s3, 0, 0
	s_addc_u32 s3, s9, -1
	s_add_i32 s4, s14, -1
	s_mul_i32 s5, s4, s18
	s_sub_i32 s5, s10, s5
	s_cmp_lt_u32 s7, s4
	v_lshrrev_b32_e32 v10, 1, v0
	s_cselect_b32 s4, s18, s5
	s_lshl_b32 s5, s15, 5
	v_and_b32_e32 v99, 16, v10
	v_add_u32_e32 v1, s5, v99
	s_mul_i32 s2, s25, s11
	v_and_b32_e32 v98, 31, v0
	v_mul_lo_u32 v1, v1, s11
	v_lshl_add_u32 v1, v98, 3, v1
	s_add_i32 s2, s4, s2
	s_lshl_b32 s18, s2, 1
	s_mov_b32 s19, 0x20000
	v_lshlrev_b32_e32 v2, 1, v1
	buffer_load_dwordx4 v[2:5], v2, s[16:19], 0 offen
	v_add_u32_e32 v11, s11, v1
	v_xor_b32_e32 v100, v99, v98
	v_lshlrev_b32_e32 v6, 8, v99
	v_lshlrev_b32_e32 v1, 1, v11
	v_lshl_or_b32 v101, v100, 3, v6
	buffer_load_dwordx4 v[6:9], v1, s[16:19], 0 offen
	v_and_b32_e32 v1, 15, v0
	v_and_b32_e32 v12, 24, v10
	;; [unrolled: 1-line block ×3, first 2 shown]
	s_lshl_b32 s6, s6, 5
	v_xor_b32_e32 v103, v102, v1
	v_lshlrev_b32_e32 v10, 8, v12
	v_add_u32_e32 v13, s6, v12
	v_lshl_or_b32 v104, v103, 4, v10
	v_add_u32_e32 v10, s11, v11
	v_mul_lo_u32 v13, v13, s12
	v_lshlrev_b32_e32 v11, 1, v10
	v_lshl_add_u32 v74, v1, 4, v13
	v_add_u32_e32 v18, s11, v10
	buffer_load_dwordx4 v[10:13], v11, s[16:19], 0 offen
	v_lshlrev_b32_e32 v14, 1, v18
	buffer_load_dwordx4 v[14:17], v14, s[16:19], 0 offen
	v_add_u32_e32 v18, s11, v18
	v_lshlrev_b32_e32 v26, 1, v18
	v_add_u32_e32 v27, s11, v18
	v_lshlrev_b32_e32 v28, 1, v27
	buffer_load_dwordx4 v[18:21], v26, s[16:19], 0 offen
	buffer_load_dwordx4 v[22:25], v28, s[16:19], 0 offen
	v_add_u32_e32 v26, s11, v27
	v_lshlrev_b32_e32 v34, 1, v26
	v_add_u32_e32 v35, s11, v26
	v_lshlrev_b32_e32 v36, 1, v35
	buffer_load_dwordx4 v[26:29], v34, s[16:19], 0 offen
	;; [unrolled: 6-line block ×5, first 2 shown]
	buffer_load_dwordx4 v[54:57], v60, s[16:19], 0 offen
	v_add_u32_e32 v58, s11, v59
	s_mul_i32 s3, s3, s12
	v_lshlrev_b32_e32 v66, 1, v58
	v_add_lshl_u32 v67, v58, s11, 1
	buffer_load_dwordx4 v[58:61], v66, s[16:19], 0 offen
	buffer_load_dwordx4 v[62:65], v67, s[16:19], 0 offen
	s_add_i32 s2, s4, s3
	s_mov_b32 s3, s19
	v_add_u32_e32 v75, s12, v74
	buffer_load_dwordx4 v[66:69], v74, s[0:3], 0 offen
	buffer_load_dwordx4 v[70:73], v75, s[0:3], 0 offen
	v_add_u32_e32 v82, s12, v75
	v_add_u32_e32 v83, s12, v82
	buffer_load_dwordx4 v[74:77], v82, s[0:3], 0 offen
	buffer_load_dwordx4 v[78:81], v83, s[0:3], 0 offen
	v_add_u32_e32 v90, s12, v83
	v_add_u32_e32 v91, s12, v90
	;; [unrolled: 1-line block ×3, first 2 shown]
	buffer_load_dwordx4 v[82:85], v90, s[0:3], 0 offen
	buffer_load_dwordx4 v[86:89], v91, s[0:3], 0 offen
	v_add_u32_e32 v106, s12, v105
	buffer_load_dwordx4 v[90:93], v105, s[0:3], 0 offen
	buffer_load_dwordx4 v[94:97], v106, s[0:3], 0 offen
	v_lshlrev_b32_e32 v105, 1, v101
	s_movk_i32 s0, 0x200
                                        ; implicit-def: $sgpr7
	s_waitcnt vmcnt(23)
	ds_write_b128 v105, v[2:5]
	v_or_b32_e32 v2, 1, v99
	v_xor_b32_e32 v2, v2, v98
	v_sub_u32_e32 v3, v2, v100
	v_lshlrev_b32_e32 v4, 3, v3
	v_or_b32_e32 v5, 2, v99
	v_lshl_add_u32 v3, v3, 4, v105
	v_xor_b32_e32 v5, v5, v98
	s_waitcnt vmcnt(22)
	ds_write_b128 v3, v[6:9] offset:512
	v_or_b32_e32 v6, 3, v99
	v_or_b32_e32 v8, 4, v99
	v_sub_u32_e32 v2, v5, v2
	v_xor_b32_e32 v6, v6, v98
	v_xor_b32_e32 v8, v8, v98
	v_lshlrev_b32_e32 v100, 3, v2
	v_sub_u32_e32 v5, v6, v5
	v_sub_u32_e32 v6, v8, v6
	v_add3_u32 v4, v4, v101, v100
	v_lshlrev_b32_e32 v7, 3, v5
	v_lshlrev_b32_e32 v9, 3, v6
	;; [unrolled: 1-line block ×3, first 2 shown]
	v_add3_u32 v4, v4, v7, v9
	v_add3_u32 v2, v3, s0, v2
	v_or_b32_e32 v3, 5, v99
	v_or_b32_e32 v9, 6, v99
	v_xor_b32_e32 v3, v3, v98
	v_xor_b32_e32 v9, v9, v98
	v_sub_u32_e32 v7, v3, v8
	v_sub_u32_e32 v3, v9, v3
	s_waitcnt vmcnt(21)
	ds_write_b128 v2, v[10:13] offset:512
	v_lshlrev_b32_e32 v8, 3, v7
	v_lshlrev_b32_e32 v10, 3, v3
	;; [unrolled: 1-line block ×3, first 2 shown]
	v_add3_u32 v4, v4, v8, v10
	v_add3_u32 v2, v2, s0, v5
	v_or_b32_e32 v5, 7, v99
	v_or_b32_e32 v10, 8, v99
	v_xor_b32_e32 v5, v5, v98
	v_xor_b32_e32 v10, v10, v98
	v_sub_u32_e32 v8, v5, v9
	v_sub_u32_e32 v5, v10, v5
	v_lshlrev_b32_e32 v9, 3, v8
	v_lshlrev_b32_e32 v11, 3, v5
	;; [unrolled: 1-line block ×3, first 2 shown]
	s_waitcnt vmcnt(20)
	ds_write_b128 v2, v[14:17] offset:512
	v_add3_u32 v4, v4, v9, v11
	v_add3_u32 v2, v2, s0, v6
	v_or_b32_e32 v6, 9, v99
	v_or_b32_e32 v11, 10, v99
	v_xor_b32_e32 v6, v6, v98
	v_xor_b32_e32 v11, v11, v98
	v_sub_u32_e32 v9, v6, v10
	v_sub_u32_e32 v6, v11, v6
	v_lshlrev_b32_e32 v7, 4, v7
	s_waitcnt vmcnt(19)
	ds_write_b128 v2, v[18:21] offset:512
	v_lshlrev_b32_e32 v10, 3, v9
	v_lshlrev_b32_e32 v12, 3, v6
	v_add3_u32 v2, v2, s0, v7
	v_lshlrev_b32_e32 v3, 4, v3
	v_add3_u32 v4, v4, v10, v12
	s_waitcnt vmcnt(18)
	ds_write_b128 v2, v[22:25] offset:512
	v_or_b32_e32 v7, 11, v99
	v_or_b32_e32 v12, 12, v99
	v_add3_u32 v2, v2, s0, v3
	v_lshlrev_b32_e32 v8, 4, v8
	v_xor_b32_e32 v7, v7, v98
	v_xor_b32_e32 v12, v12, v98
	s_waitcnt vmcnt(17)
	ds_write_b128 v2, v[26:29] offset:512
	v_add3_u32 v2, v2, s0, v8
	v_lshlrev_b32_e32 v5, 4, v5
	v_sub_u32_e32 v10, v7, v11
	v_sub_u32_e32 v7, v12, v7
	s_waitcnt vmcnt(16)
	ds_write_b128 v2, v[30:33] offset:512
	v_add3_u32 v2, v2, s0, v5
	v_lshlrev_b32_e32 v5, 4, v9
	v_lshlrev_b32_e32 v11, 3, v10
	v_lshlrev_b32_e32 v13, 3, v7
	v_or_b32_e32 v3, 13, v99
	s_waitcnt vmcnt(15)
	ds_write_b128 v2, v[34:37] offset:512
	v_add3_u32 v2, v2, s0, v5
	v_lshlrev_b32_e32 v5, 4, v6
	v_add3_u32 v4, v4, v11, v13
	v_xor_b32_e32 v3, v3, v98
	v_or_b32_e32 v13, 14, v99
	s_waitcnt vmcnt(14)
	ds_write_b128 v2, v[38:41] offset:512
	v_add3_u32 v2, v2, s0, v5
	v_lshlrev_b32_e32 v5, 4, v10
	v_sub_u32_e32 v11, v3, v12
	v_xor_b32_e32 v13, v13, v98
	v_or_b32_e32 v8, 15, v99
	s_waitcnt vmcnt(13)
	ds_write_b128 v2, v[42:45] offset:512
	v_add3_u32 v2, v2, s0, v5
	v_lshlrev_b32_e32 v5, 4, v7
	v_sub_u32_e32 v3, v13, v3
	v_xor_b32_e32 v8, v8, v98
	s_waitcnt vmcnt(12)
	ds_write_b128 v2, v[46:49] offset:512
	v_add3_u32 v2, v2, s0, v5
	v_lshlrev_b32_e32 v5, 4, v11
	v_lshlrev_b32_e32 v12, 3, v11
	;; [unrolled: 1-line block ×3, first 2 shown]
	v_sub_u32_e32 v8, v8, v13
	s_waitcnt vmcnt(11)
	ds_write_b128 v2, v[50:53] offset:512
	v_add3_u32 v2, v2, s0, v5
	v_lshlrev_b32_e32 v3, 4, v3
	v_add3_u32 v4, v4, v12, v14
	v_lshlrev_b32_e32 v8, 4, v8
	s_waitcnt vmcnt(10)
	ds_write_b128 v2, v[54:57] offset:512
	v_add3_u32 v2, v2, s0, v3
	v_lshl_add_u32 v4, v4, 1, v8
	s_waitcnt vmcnt(9)
	ds_write_b128 v2, v[58:61] offset:512
	s_waitcnt vmcnt(8)
	ds_write_b128 v4, v[62:65] offset:7680
	;; [unrolled: 2-line block ×3, first 2 shown]
	v_or_b32_e32 v2, 1, v102
	v_xor_b32_e32 v2, v2, v1
	v_or_b32_e32 v4, 2, v102
	v_sub_u32_e32 v3, v2, v103
	v_xor_b32_e32 v4, v4, v1
	v_lshl_add_u32 v3, v3, 4, v104
	v_sub_u32_e32 v2, v4, v2
	v_lshl_add_u32 v2, v2, 4, v3
	s_waitcnt vmcnt(6)
	ds_write_b128 v3, v[70:73] offset:16640
	v_or_b32_e32 v3, 3, v102
	v_xor_b32_e32 v3, v3, v1
	v_sub_u32_e32 v4, v3, v4
	v_or_b32_e32 v5, 4, v102
	v_lshl_add_u32 v4, v4, 4, v2
	v_xor_b32_e32 v5, v5, v1
	s_waitcnt vmcnt(5)
	ds_write_b128 v2, v[74:77] offset:16896
	v_or_b32_e32 v2, 5, v102
	v_sub_u32_e32 v3, v5, v3
	v_xor_b32_e32 v2, v2, v1
	v_or_b32_e32 v6, 6, v102
	v_lshl_add_u32 v3, v3, 4, v4
	v_sub_u32_e32 v5, v2, v5
	v_xor_b32_e32 v6, v6, v1
	s_waitcnt vmcnt(4)
	ds_write_b128 v4, v[78:81] offset:17152
	v_or_b32_e32 v4, 7, v102
	v_lshlrev_b32_e32 v98, 2, v0
	v_lshl_add_u32 v5, v5, 4, v3
	v_sub_u32_e32 v2, v6, v2
	v_xor_b32_e32 v4, v4, v1
	v_and_b32_e32 v99, 0xc0, v98
	v_lshl_add_u32 v2, v2, 4, v5
	v_sub_u32_e32 v4, v4, v6
	v_lshrrev_b32_e32 v10, 3, v99
	v_lshl_add_u32 v4, v4, 4, v2
	s_waitcnt vmcnt(3)
	ds_write_b128 v3, v[82:85] offset:17408
	s_waitcnt vmcnt(2)
	ds_write_b128 v5, v[86:89] offset:17664
	s_waitcnt vmcnt(1)
	ds_write_b128 v2, v[90:93] offset:17920
	s_waitcnt vmcnt(0)
	ds_write_b128 v4, v[94:97] offset:18176
	v_lshrrev_b32_e32 v2, 4, v99
	v_or_b32_e32 v15, 1, v10
	v_xor_b32_e32 v11, v10, v1
	v_xor_b32_e32 v12, v2, v1
	v_lshlrev_b32_e32 v2, 9, v1
	v_xor_b32_e32 v3, v15, v1
	v_or_b32_e32 v16, 16, v99
	v_lshl_or_b32 v14, v11, 4, v2
	v_lshl_or_b32 v3, v3, 4, v2
	v_lshrrev_b32_e32 v17, 3, v16
	v_or_b32_e32 v26, 3, v10
	s_waitcnt lgkmcnt(0)
	; wave barrier
	ds_read_b128 v[54:57], v14
	ds_read_b128 v[50:53], v3
	v_xor_b32_e32 v3, v17, v1
	v_xor_b32_e32 v4, v26, v1
	v_or_b32_e32 v27, 32, v99
	v_lshl_or_b32 v3, v3, 4, v2
	v_lshl_or_b32 v4, v4, 4, v2
	v_lshrrev_b32_e32 v28, 3, v27
	v_or_b32_e32 v29, 5, v10
	ds_read_b128 v[38:41], v3
	ds_read_b128 v[34:37], v4
	v_xor_b32_e32 v3, v28, v1
	v_xor_b32_e32 v4, v29, v1
	v_or_b32_e32 v30, 48, v99
	v_lshlrev_b32_e32 v13, 8, v1
	v_lshl_or_b32 v3, v3, 4, v2
	v_lshl_or_b32 v4, v4, 4, v2
	v_lshrrev_b32_e32 v100, 3, v30
	v_or_b32_e32 v101, 7, v10
	v_lshrrev_b32_e32 v16, 4, v16
	v_lshrrev_b32_e32 v27, 4, v27
	;; [unrolled: 1-line block ×3, first 2 shown]
	ds_read_b128 v[22:25], v3
	ds_read_b128 v[18:21], v4
	v_xor_b32_e32 v3, v100, v1
	v_xor_b32_e32 v4, v101, v1
	v_lshl_or_b32 v31, v12, 4, v13
	v_xor_b32_e32 v16, v16, v1
	v_xor_b32_e32 v27, v27, v1
	;; [unrolled: 1-line block ×3, first 2 shown]
	v_lshl_or_b32 v3, v3, 4, v2
	v_lshl_or_b32 v2, v4, 4, v2
	v_or_b32_e32 v32, 0x4000, v31
	v_lshl_or_b32 v33, v16, 4, v13
	v_lshl_or_b32 v42, v27, 4, v13
	;; [unrolled: 1-line block ×3, first 2 shown]
	v_sub_u32_e32 v16, v16, v12
	ds_read_b128 v[6:9], v3
	ds_read_b128 v[2:5], v2
	ds_read_b128 v[90:93], v33 offset:16384
	ds_read_b128 v[86:89], v42 offset:16384
	ds_read_b128 v[94:97], v31 offset:16384
	ds_read_b128 v[78:81], v31 offset:20480
	v_lshl_add_u32 v16, v16, 4, v32
	ds_read_b128 v[82:85], v13 offset:16384
	ds_read_b128 v[74:77], v16 offset:4096
	v_sub_u32_e32 v13, v27, v12
	v_sub_u32_e32 v12, v30, v12
	v_lshl_add_u32 v13, v13, 4, v32
	v_lshl_add_u32 v12, v12, 4, v32
	ds_read_b128 v[70:73], v13 offset:4096
	ds_read_b128 v[66:69], v12 offset:4096
	v_or_b32_e32 v12, 16, v1
	v_xor_b32_sdwa v10, v10, v12 dst_sel:DWORD dst_unused:UNUSED_PAD src0_sel:DWORD src1_sel:WORD_0
	v_sub_u32_e32 v10, v10, v11
	v_xor_b32_sdwa v13, v15, v12 dst_sel:DWORD dst_unused:UNUSED_PAD src0_sel:DWORD src1_sel:WORD_0
	v_lshl_add_u32 v10, v10, 4, v14
	v_sub_u32_e32 v13, v13, v11
	v_lshl_add_u32 v13, v13, 4, v14
	ds_read_b128 v[62:65], v10 offset:8192
	ds_read_b128 v[58:61], v13 offset:8192
	v_xor_b32_sdwa v10, v17, v12 dst_sel:DWORD dst_unused:UNUSED_PAD src0_sel:DWORD src1_sel:WORD_0
	v_sub_u32_e32 v10, v10, v11
	v_xor_b32_sdwa v13, v26, v12 dst_sel:DWORD dst_unused:UNUSED_PAD src0_sel:DWORD src1_sel:WORD_0
	v_lshl_add_u32 v10, v10, 4, v14
	v_sub_u32_e32 v13, v13, v11
	v_lshl_add_u32 v13, v13, 4, v14
	ds_read_b128 v[46:49], v10 offset:8192
	ds_read_b128 v[42:45], v13 offset:8192
	;; [unrolled: 8-line block ×3, first 2 shown]
	v_xor_b32_sdwa v10, v100, v12 dst_sel:DWORD dst_unused:UNUSED_PAD src0_sel:DWORD src1_sel:WORD_0
	v_xor_b32_sdwa v12, v101, v12 dst_sel:DWORD dst_unused:UNUSED_PAD src0_sel:DWORD src1_sel:WORD_0
	v_sub_u32_e32 v10, v10, v11
	v_sub_u32_e32 v11, v12, v11
	v_lshl_add_u32 v10, v10, 4, v14
	v_lshl_add_u32 v11, v11, 4, v14
	ds_read_b128 v[14:17], v10 offset:8192
	ds_read_b128 v[10:13], v11 offset:8192
	s_movk_i32 s0, 0x7f
	s_waitcnt lgkmcnt(13)
	v_cmp_gt_i16_sdwa s[2:3], v94, s0 src0_sel:BYTE_0 src1_sel:DWORD
	s_mov_b64 s[0:1], 0
	s_and_saveexec_b64 s[4:5], s[2:3]
	s_xor_b64 s[2:3], exec, s[4:5]
	s_cbranch_execnz .LBB7_523
; %bb.11:
	s_or_saveexec_b64 s[2:3], s[2:3]
	v_mov_b32_e32 v100, s7
	s_xor_b64 exec, exec, s[2:3]
	s_cbranch_execnz .LBB7_526
.LBB7_12:
	s_or_b64 exec, exec, s[2:3]
	s_and_saveexec_b64 s[2:3], s[0:1]
	s_cbranch_execz .LBB7_14
.LBB7_13:
	v_and_b32_e32 v100, 7, v94
	v_ffbh_u32_e32 v103, v100
	v_min_u32_e32 v103, 32, v103
	v_lshrrev_b16_e32 v102, 3, v94
	v_subrev_u32_e32 v104, 28, v103
	v_and_b32_e32 v102, 15, v102
	v_lshlrev_b32_e32 v104, v104, v100
	v_sub_u32_e32 v103, 29, v103
	v_and_b32_e32 v104, 7, v104
	v_cmp_eq_u16_e32 vcc, 0, v102
	v_lshrrev_b16_e32 v101, 7, v94
	v_cndmask_b32_e32 v100, v100, v104, vcc
	v_cndmask_b32_e32 v102, v102, v103, vcc
	v_mov_b32_e32 v103, 0x3b800000
	v_lshlrev_b32_e32 v100, 20, v100
	v_lshlrev_b32_e32 v101, 31, v101
	v_lshl_add_u32 v102, v102, 23, v103
	v_or3_b32 v100, v101, v102, v100
.LBB7_14:
	s_or_b64 exec, exec, s[2:3]
	s_movk_i32 s0, 0x7f
	v_cmp_gt_i16_sdwa s[2:3], v94, s0 src0_sel:BYTE_1 src1_sel:DWORD
	s_mov_b64 s[0:1], 0
                                        ; implicit-def: $sgpr7
	s_and_saveexec_b64 s[4:5], s[2:3]
	s_xor_b64 s[2:3], exec, s[4:5]
	s_cbranch_execnz .LBB7_527
; %bb.15:
	s_or_saveexec_b64 s[2:3], s[2:3]
	v_mov_b32_e32 v101, s7
	s_xor_b64 exec, exec, s[2:3]
	s_cbranch_execnz .LBB7_530
.LBB7_16:
	s_or_b64 exec, exec, s[2:3]
	s_and_saveexec_b64 s[2:3], s[0:1]
	s_cbranch_execz .LBB7_18
.LBB7_17:
	v_mov_b32_e32 v101, 7
	v_and_b32_sdwa v101, v94, v101 dst_sel:DWORD dst_unused:UNUSED_PAD src0_sel:BYTE_1 src1_sel:DWORD
	v_ffbh_u32_e32 v104, v101
	v_min_u32_e32 v104, 32, v104
	v_lshrrev_b16_e32 v103, 11, v94
	v_subrev_u32_e32 v105, 28, v104
	v_and_b32_e32 v103, 15, v103
	v_lshlrev_b32_e32 v105, v105, v101
	v_sub_u32_e32 v104, 29, v104
	v_and_b32_e32 v105, 7, v105
	v_cmp_eq_u16_e32 vcc, 0, v103
	v_lshrrev_b16_e32 v102, 15, v94
	v_cndmask_b32_e32 v101, v101, v105, vcc
	v_cndmask_b32_e32 v103, v103, v104, vcc
	v_mov_b32_e32 v104, 0x3b800000
	v_lshlrev_b32_e32 v101, 20, v101
	v_lshlrev_b32_e32 v102, 31, v102
	v_lshl_add_u32 v103, v103, 23, v104
	v_or3_b32 v101, v102, v103, v101
.LBB7_18:
	s_or_b64 exec, exec, s[2:3]
	s_movk_i32 s0, 0xff
	v_and_b32_sdwa v103, v94, s0 dst_sel:DWORD dst_unused:UNUSED_PAD src0_sel:WORD_1 src1_sel:DWORD
	s_movk_i32 s0, 0x7f
	v_cmp_lt_i16_e32 vcc, s0, v103
	s_mov_b64 s[0:1], 0
                                        ; implicit-def: $sgpr7
	s_and_saveexec_b64 s[2:3], vcc
	s_xor_b64 s[2:3], exec, s[2:3]
	s_cbranch_execnz .LBB7_531
; %bb.19:
	s_or_saveexec_b64 s[2:3], s[2:3]
	v_mov_b32_e32 v102, s7
	s_xor_b64 exec, exec, s[2:3]
	s_cbranch_execnz .LBB7_534
.LBB7_20:
	s_or_b64 exec, exec, s[2:3]
	s_and_saveexec_b64 s[2:3], s[0:1]
	s_cbranch_execz .LBB7_22
.LBB7_21:
	v_mov_b32_e32 v102, 7
	v_and_b32_sdwa v103, v94, v102 dst_sel:DWORD dst_unused:UNUSED_PAD src0_sel:WORD_1 src1_sel:DWORD
	v_ffbh_u32_e32 v105, v103
	v_mov_b32_e32 v104, 3
	v_min_u32_e32 v105, 32, v105
	v_lshrrev_b16_sdwa v104, v104, v94 dst_sel:DWORD dst_unused:UNUSED_PAD src0_sel:DWORD src1_sel:WORD_1
	v_subrev_u32_e32 v106, 28, v105
	v_and_b32_e32 v104, 15, v104
	v_lshlrev_b32_e32 v106, v106, v103
	v_sub_u32_e32 v105, 29, v105
	v_and_b32_e32 v106, 7, v106
	v_cmp_eq_u16_e32 vcc, 0, v104
	v_lshrrev_b16_sdwa v102, v102, v94 dst_sel:DWORD dst_unused:UNUSED_PAD src0_sel:DWORD src1_sel:WORD_1
	v_cndmask_b32_e32 v103, v103, v106, vcc
	v_cndmask_b32_e32 v104, v104, v105, vcc
	v_mov_b32_e32 v105, 0x3b800000
	v_lshlrev_b32_e32 v103, 20, v103
	v_lshlrev_b32_e32 v102, 31, v102
	v_lshl_add_u32 v104, v104, 23, v105
	v_or3_b32 v102, v102, v104, v103
.LBB7_22:
	s_or_b64 exec, exec, s[2:3]
	v_mov_b32_e32 v103, 8
	v_lshrrev_b16_sdwa v104, v103, v94 dst_sel:DWORD dst_unused:UNUSED_PAD src0_sel:DWORD src1_sel:WORD_1
	s_movk_i32 s0, 0x7f
	v_cmp_lt_i16_e32 vcc, s0, v104
	s_mov_b64 s[0:1], 0
                                        ; implicit-def: $sgpr7
	s_and_saveexec_b64 s[2:3], vcc
	s_xor_b64 s[2:3], exec, s[2:3]
	s_cbranch_execnz .LBB7_535
; %bb.23:
	s_or_saveexec_b64 s[2:3], s[2:3]
	v_mov_b32_e32 v103, s7
	s_xor_b64 exec, exec, s[2:3]
	s_cbranch_execnz .LBB7_538
.LBB7_24:
	s_or_b64 exec, exec, s[2:3]
	s_and_saveexec_b64 s[2:3], s[0:1]
	s_cbranch_execz .LBB7_26
.LBB7_25:
	v_mov_b32_e32 v103, 8
	v_lshrrev_b16_sdwa v103, v103, v94 dst_sel:DWORD dst_unused:UNUSED_PAD src0_sel:DWORD src1_sel:WORD_1
	v_and_b32_e32 v103, 7, v103
	v_mov_b32_e32 v104, 15
	v_mov_b32_e32 v105, 11
	v_lshrrev_b16_sdwa v104, v104, v94 dst_sel:DWORD dst_unused:UNUSED_PAD src0_sel:DWORD src1_sel:WORD_1
	v_lshrrev_b16_sdwa v94, v105, v94 dst_sel:DWORD dst_unused:UNUSED_PAD src0_sel:DWORD src1_sel:WORD_1
	v_ffbh_u32_e32 v105, v103
	v_min_u32_e32 v105, 32, v105
	v_subrev_u32_e32 v106, 28, v105
	v_and_b32_e32 v94, 15, v94
	v_lshlrev_b32_e32 v106, v106, v103
	v_sub_u32_e32 v105, 29, v105
	v_and_b32_e32 v106, 7, v106
	v_cmp_eq_u16_e32 vcc, 0, v94
	v_cndmask_b32_e32 v103, v103, v106, vcc
	v_cndmask_b32_e32 v94, v94, v105, vcc
	v_mov_b32_e32 v105, 0x3b800000
	v_lshlrev_b32_e32 v103, 20, v103
	v_lshlrev_b32_e32 v104, 31, v104
	v_lshl_add_u32 v94, v94, 23, v105
	v_or3_b32 v103, v104, v94, v103
.LBB7_26:
	s_or_b64 exec, exec, s[2:3]
	s_movk_i32 s0, 0x7f
	v_cmp_gt_i16_sdwa s[2:3], v95, s0 src0_sel:BYTE_0 src1_sel:DWORD
	s_mov_b64 s[0:1], 0
                                        ; implicit-def: $sgpr7
	s_and_saveexec_b64 s[4:5], s[2:3]
	s_xor_b64 s[2:3], exec, s[4:5]
	s_cbranch_execnz .LBB7_539
; %bb.27:
	s_or_saveexec_b64 s[2:3], s[2:3]
	v_mov_b32_e32 v94, s7
	s_xor_b64 exec, exec, s[2:3]
	s_cbranch_execnz .LBB7_542
.LBB7_28:
	s_or_b64 exec, exec, s[2:3]
	s_and_saveexec_b64 s[2:3], s[0:1]
	s_cbranch_execz .LBB7_30
.LBB7_29:
	v_and_b32_e32 v94, 7, v95
	v_ffbh_u32_e32 v106, v94
	v_min_u32_e32 v106, 32, v106
	v_lshrrev_b16_e32 v105, 3, v95
	v_subrev_u32_e32 v107, 28, v106
	v_and_b32_e32 v105, 15, v105
	v_lshlrev_b32_e32 v107, v107, v94
	v_sub_u32_e32 v106, 29, v106
	v_and_b32_e32 v107, 7, v107
	v_cmp_eq_u16_e32 vcc, 0, v105
	v_lshrrev_b16_e32 v104, 7, v95
	v_cndmask_b32_e32 v94, v94, v107, vcc
	v_cndmask_b32_e32 v105, v105, v106, vcc
	v_mov_b32_e32 v106, 0x3b800000
	v_lshlrev_b32_e32 v94, 20, v94
	v_lshlrev_b32_e32 v104, 31, v104
	v_lshl_add_u32 v105, v105, 23, v106
	v_or3_b32 v94, v104, v105, v94
.LBB7_30:
	s_or_b64 exec, exec, s[2:3]
	s_movk_i32 s0, 0x7f
	v_cmp_gt_i16_sdwa s[2:3], v95, s0 src0_sel:BYTE_1 src1_sel:DWORD
	s_mov_b64 s[0:1], 0
                                        ; implicit-def: $sgpr7
	s_and_saveexec_b64 s[4:5], s[2:3]
	s_xor_b64 s[2:3], exec, s[4:5]
	s_cbranch_execnz .LBB7_543
; %bb.31:
	s_or_saveexec_b64 s[2:3], s[2:3]
	v_mov_b32_e32 v104, s7
	s_xor_b64 exec, exec, s[2:3]
	s_cbranch_execnz .LBB7_546
.LBB7_32:
	s_or_b64 exec, exec, s[2:3]
	s_and_saveexec_b64 s[2:3], s[0:1]
	s_cbranch_execz .LBB7_34
.LBB7_33:
	v_mov_b32_e32 v104, 7
	v_and_b32_sdwa v104, v95, v104 dst_sel:DWORD dst_unused:UNUSED_PAD src0_sel:BYTE_1 src1_sel:DWORD
	v_ffbh_u32_e32 v107, v104
	v_min_u32_e32 v107, 32, v107
	v_lshrrev_b16_e32 v106, 11, v95
	v_subrev_u32_e32 v108, 28, v107
	v_and_b32_e32 v106, 15, v106
	v_lshlrev_b32_e32 v108, v108, v104
	v_sub_u32_e32 v107, 29, v107
	v_and_b32_e32 v108, 7, v108
	v_cmp_eq_u16_e32 vcc, 0, v106
	v_lshrrev_b16_e32 v105, 15, v95
	v_cndmask_b32_e32 v104, v104, v108, vcc
	v_cndmask_b32_e32 v106, v106, v107, vcc
	v_mov_b32_e32 v107, 0x3b800000
	v_lshlrev_b32_e32 v104, 20, v104
	v_lshlrev_b32_e32 v105, 31, v105
	v_lshl_add_u32 v106, v106, 23, v107
	v_or3_b32 v104, v105, v106, v104
.LBB7_34:
	s_or_b64 exec, exec, s[2:3]
	s_movk_i32 s0, 0xff
	v_and_b32_sdwa v106, v95, s0 dst_sel:DWORD dst_unused:UNUSED_PAD src0_sel:WORD_1 src1_sel:DWORD
	s_movk_i32 s0, 0x7f
	v_cmp_lt_i16_e32 vcc, s0, v106
	s_mov_b64 s[0:1], 0
                                        ; implicit-def: $sgpr7
	s_and_saveexec_b64 s[2:3], vcc
	s_xor_b64 s[2:3], exec, s[2:3]
	s_cbranch_execnz .LBB7_547
; %bb.35:
	s_or_saveexec_b64 s[2:3], s[2:3]
	v_mov_b32_e32 v105, s7
	s_xor_b64 exec, exec, s[2:3]
	s_cbranch_execnz .LBB7_550
.LBB7_36:
	s_or_b64 exec, exec, s[2:3]
	s_and_saveexec_b64 s[2:3], s[0:1]
	s_cbranch_execz .LBB7_38
.LBB7_37:
	v_mov_b32_e32 v105, 7
	v_and_b32_sdwa v106, v95, v105 dst_sel:DWORD dst_unused:UNUSED_PAD src0_sel:WORD_1 src1_sel:DWORD
	v_ffbh_u32_e32 v108, v106
	v_mov_b32_e32 v107, 3
	v_min_u32_e32 v108, 32, v108
	v_lshrrev_b16_sdwa v107, v107, v95 dst_sel:DWORD dst_unused:UNUSED_PAD src0_sel:DWORD src1_sel:WORD_1
	v_subrev_u32_e32 v109, 28, v108
	v_and_b32_e32 v107, 15, v107
	v_lshlrev_b32_e32 v109, v109, v106
	v_sub_u32_e32 v108, 29, v108
	v_and_b32_e32 v109, 7, v109
	v_cmp_eq_u16_e32 vcc, 0, v107
	v_lshrrev_b16_sdwa v105, v105, v95 dst_sel:DWORD dst_unused:UNUSED_PAD src0_sel:DWORD src1_sel:WORD_1
	v_cndmask_b32_e32 v106, v106, v109, vcc
	v_cndmask_b32_e32 v107, v107, v108, vcc
	v_mov_b32_e32 v108, 0x3b800000
	v_lshlrev_b32_e32 v106, 20, v106
	v_lshlrev_b32_e32 v105, 31, v105
	v_lshl_add_u32 v107, v107, 23, v108
	v_or3_b32 v105, v105, v107, v106
.LBB7_38:
	s_or_b64 exec, exec, s[2:3]
	v_mov_b32_e32 v106, 8
	v_lshrrev_b16_sdwa v107, v106, v95 dst_sel:DWORD dst_unused:UNUSED_PAD src0_sel:DWORD src1_sel:WORD_1
	s_movk_i32 s0, 0x7f
	v_cmp_lt_i16_e32 vcc, s0, v107
	s_mov_b64 s[0:1], 0
                                        ; implicit-def: $sgpr7
	s_and_saveexec_b64 s[2:3], vcc
	s_xor_b64 s[2:3], exec, s[2:3]
	s_cbranch_execnz .LBB7_551
; %bb.39:
	s_or_saveexec_b64 s[2:3], s[2:3]
	v_mov_b32_e32 v106, s7
	s_xor_b64 exec, exec, s[2:3]
	s_cbranch_execnz .LBB7_554
.LBB7_40:
	s_or_b64 exec, exec, s[2:3]
	s_and_saveexec_b64 s[2:3], s[0:1]
	s_cbranch_execz .LBB7_42
.LBB7_41:
	v_mov_b32_e32 v106, 8
	v_lshrrev_b16_sdwa v106, v106, v95 dst_sel:DWORD dst_unused:UNUSED_PAD src0_sel:DWORD src1_sel:WORD_1
	v_and_b32_e32 v106, 7, v106
	v_mov_b32_e32 v107, 15
	v_mov_b32_e32 v108, 11
	v_lshrrev_b16_sdwa v107, v107, v95 dst_sel:DWORD dst_unused:UNUSED_PAD src0_sel:DWORD src1_sel:WORD_1
	v_lshrrev_b16_sdwa v95, v108, v95 dst_sel:DWORD dst_unused:UNUSED_PAD src0_sel:DWORD src1_sel:WORD_1
	v_ffbh_u32_e32 v108, v106
	v_min_u32_e32 v108, 32, v108
	v_subrev_u32_e32 v109, 28, v108
	v_and_b32_e32 v95, 15, v95
	v_lshlrev_b32_e32 v109, v109, v106
	v_sub_u32_e32 v108, 29, v108
	v_and_b32_e32 v109, 7, v109
	v_cmp_eq_u16_e32 vcc, 0, v95
	v_cndmask_b32_e32 v106, v106, v109, vcc
	v_cndmask_b32_e32 v95, v95, v108, vcc
	v_mov_b32_e32 v108, 0x3b800000
	v_lshlrev_b32_e32 v106, 20, v106
	v_lshlrev_b32_e32 v107, 31, v107
	v_lshl_add_u32 v95, v95, 23, v108
	v_or3_b32 v106, v107, v95, v106
.LBB7_42:
	s_or_b64 exec, exec, s[2:3]
	s_movk_i32 s0, 0x7f
	v_cmp_gt_i16_sdwa s[2:3], v96, s0 src0_sel:BYTE_0 src1_sel:DWORD
	s_mov_b64 s[0:1], 0
                                        ; implicit-def: $sgpr7
	s_and_saveexec_b64 s[4:5], s[2:3]
	s_xor_b64 s[2:3], exec, s[4:5]
	s_cbranch_execnz .LBB7_555
; %bb.43:
	s_or_saveexec_b64 s[2:3], s[2:3]
	v_mov_b32_e32 v95, s7
	s_xor_b64 exec, exec, s[2:3]
	s_cbranch_execnz .LBB7_558
.LBB7_44:
	s_or_b64 exec, exec, s[2:3]
	s_and_saveexec_b64 s[2:3], s[0:1]
	s_cbranch_execz .LBB7_46
.LBB7_45:
	v_and_b32_e32 v95, 7, v96
	v_ffbh_u32_e32 v109, v95
	v_min_u32_e32 v109, 32, v109
	v_lshrrev_b16_e32 v108, 3, v96
	v_subrev_u32_e32 v110, 28, v109
	v_and_b32_e32 v108, 15, v108
	v_lshlrev_b32_e32 v110, v110, v95
	v_sub_u32_e32 v109, 29, v109
	v_and_b32_e32 v110, 7, v110
	v_cmp_eq_u16_e32 vcc, 0, v108
	v_lshrrev_b16_e32 v107, 7, v96
	v_cndmask_b32_e32 v95, v95, v110, vcc
	v_cndmask_b32_e32 v108, v108, v109, vcc
	v_mov_b32_e32 v109, 0x3b800000
	v_lshlrev_b32_e32 v95, 20, v95
	v_lshlrev_b32_e32 v107, 31, v107
	v_lshl_add_u32 v108, v108, 23, v109
	v_or3_b32 v95, v107, v108, v95
.LBB7_46:
	s_or_b64 exec, exec, s[2:3]
	s_movk_i32 s0, 0x7f
	v_cmp_gt_i16_sdwa s[2:3], v96, s0 src0_sel:BYTE_1 src1_sel:DWORD
	s_mov_b64 s[0:1], 0
                                        ; implicit-def: $sgpr7
	s_and_saveexec_b64 s[4:5], s[2:3]
	s_xor_b64 s[2:3], exec, s[4:5]
	s_cbranch_execnz .LBB7_559
; %bb.47:
	s_or_saveexec_b64 s[2:3], s[2:3]
	v_mov_b32_e32 v107, s7
	s_xor_b64 exec, exec, s[2:3]
	s_cbranch_execnz .LBB7_562
.LBB7_48:
	s_or_b64 exec, exec, s[2:3]
	s_and_saveexec_b64 s[2:3], s[0:1]
	s_cbranch_execz .LBB7_50
.LBB7_49:
	v_mov_b32_e32 v107, 7
	v_and_b32_sdwa v107, v96, v107 dst_sel:DWORD dst_unused:UNUSED_PAD src0_sel:BYTE_1 src1_sel:DWORD
	v_ffbh_u32_e32 v110, v107
	v_min_u32_e32 v110, 32, v110
	v_lshrrev_b16_e32 v109, 11, v96
	v_subrev_u32_e32 v111, 28, v110
	v_and_b32_e32 v109, 15, v109
	v_lshlrev_b32_e32 v111, v111, v107
	v_sub_u32_e32 v110, 29, v110
	v_and_b32_e32 v111, 7, v111
	v_cmp_eq_u16_e32 vcc, 0, v109
	v_lshrrev_b16_e32 v108, 15, v96
	v_cndmask_b32_e32 v107, v107, v111, vcc
	v_cndmask_b32_e32 v109, v109, v110, vcc
	v_mov_b32_e32 v110, 0x3b800000
	v_lshlrev_b32_e32 v107, 20, v107
	v_lshlrev_b32_e32 v108, 31, v108
	v_lshl_add_u32 v109, v109, 23, v110
	v_or3_b32 v107, v108, v109, v107
.LBB7_50:
	s_or_b64 exec, exec, s[2:3]
	s_movk_i32 s0, 0xff
	v_and_b32_sdwa v109, v96, s0 dst_sel:DWORD dst_unused:UNUSED_PAD src0_sel:WORD_1 src1_sel:DWORD
	s_movk_i32 s0, 0x7f
	v_cmp_lt_i16_e32 vcc, s0, v109
	s_mov_b64 s[0:1], 0
                                        ; implicit-def: $sgpr7
	s_and_saveexec_b64 s[2:3], vcc
	s_xor_b64 s[2:3], exec, s[2:3]
	s_cbranch_execnz .LBB7_563
; %bb.51:
	s_or_saveexec_b64 s[2:3], s[2:3]
	v_mov_b32_e32 v108, s7
	s_xor_b64 exec, exec, s[2:3]
	s_cbranch_execnz .LBB7_566
.LBB7_52:
	s_or_b64 exec, exec, s[2:3]
	s_and_saveexec_b64 s[2:3], s[0:1]
	s_cbranch_execz .LBB7_54
.LBB7_53:
	v_mov_b32_e32 v108, 7
	v_and_b32_sdwa v109, v96, v108 dst_sel:DWORD dst_unused:UNUSED_PAD src0_sel:WORD_1 src1_sel:DWORD
	v_ffbh_u32_e32 v111, v109
	v_mov_b32_e32 v110, 3
	v_min_u32_e32 v111, 32, v111
	v_lshrrev_b16_sdwa v110, v110, v96 dst_sel:DWORD dst_unused:UNUSED_PAD src0_sel:DWORD src1_sel:WORD_1
	v_subrev_u32_e32 v112, 28, v111
	v_and_b32_e32 v110, 15, v110
	v_lshlrev_b32_e32 v112, v112, v109
	v_sub_u32_e32 v111, 29, v111
	v_and_b32_e32 v112, 7, v112
	v_cmp_eq_u16_e32 vcc, 0, v110
	v_lshrrev_b16_sdwa v108, v108, v96 dst_sel:DWORD dst_unused:UNUSED_PAD src0_sel:DWORD src1_sel:WORD_1
	v_cndmask_b32_e32 v109, v109, v112, vcc
	v_cndmask_b32_e32 v110, v110, v111, vcc
	v_mov_b32_e32 v111, 0x3b800000
	v_lshlrev_b32_e32 v109, 20, v109
	v_lshlrev_b32_e32 v108, 31, v108
	v_lshl_add_u32 v110, v110, 23, v111
	v_or3_b32 v108, v108, v110, v109
.LBB7_54:
	s_or_b64 exec, exec, s[2:3]
	v_mov_b32_e32 v109, 8
	v_lshrrev_b16_sdwa v110, v109, v96 dst_sel:DWORD dst_unused:UNUSED_PAD src0_sel:DWORD src1_sel:WORD_1
	s_movk_i32 s0, 0x7f
	v_cmp_lt_i16_e32 vcc, s0, v110
	s_mov_b64 s[0:1], 0
                                        ; implicit-def: $sgpr7
	s_and_saveexec_b64 s[2:3], vcc
	s_xor_b64 s[2:3], exec, s[2:3]
	s_cbranch_execnz .LBB7_567
; %bb.55:
	s_or_saveexec_b64 s[2:3], s[2:3]
	v_mov_b32_e32 v109, s7
	s_xor_b64 exec, exec, s[2:3]
	s_cbranch_execnz .LBB7_570
.LBB7_56:
	s_or_b64 exec, exec, s[2:3]
	s_and_saveexec_b64 s[2:3], s[0:1]
	s_cbranch_execz .LBB7_58
.LBB7_57:
	v_mov_b32_e32 v109, 8
	v_lshrrev_b16_sdwa v109, v109, v96 dst_sel:DWORD dst_unused:UNUSED_PAD src0_sel:DWORD src1_sel:WORD_1
	v_and_b32_e32 v109, 7, v109
	v_mov_b32_e32 v110, 15
	v_mov_b32_e32 v111, 11
	v_lshrrev_b16_sdwa v110, v110, v96 dst_sel:DWORD dst_unused:UNUSED_PAD src0_sel:DWORD src1_sel:WORD_1
	v_lshrrev_b16_sdwa v96, v111, v96 dst_sel:DWORD dst_unused:UNUSED_PAD src0_sel:DWORD src1_sel:WORD_1
	v_ffbh_u32_e32 v111, v109
	v_min_u32_e32 v111, 32, v111
	v_subrev_u32_e32 v112, 28, v111
	v_and_b32_e32 v96, 15, v96
	v_lshlrev_b32_e32 v112, v112, v109
	v_sub_u32_e32 v111, 29, v111
	v_and_b32_e32 v112, 7, v112
	v_cmp_eq_u16_e32 vcc, 0, v96
	v_cndmask_b32_e32 v109, v109, v112, vcc
	v_cndmask_b32_e32 v96, v96, v111, vcc
	v_mov_b32_e32 v111, 0x3b800000
	v_lshlrev_b32_e32 v109, 20, v109
	v_lshlrev_b32_e32 v110, 31, v110
	v_lshl_add_u32 v96, v96, 23, v111
	v_or3_b32 v109, v110, v96, v109
.LBB7_58:
	s_or_b64 exec, exec, s[2:3]
	s_movk_i32 s0, 0x7f
	v_cmp_gt_i16_sdwa s[2:3], v97, s0 src0_sel:BYTE_0 src1_sel:DWORD
	s_mov_b64 s[0:1], 0
                                        ; implicit-def: $sgpr7
	s_and_saveexec_b64 s[4:5], s[2:3]
	s_xor_b64 s[2:3], exec, s[4:5]
	s_cbranch_execnz .LBB7_571
; %bb.59:
	s_or_saveexec_b64 s[2:3], s[2:3]
	v_mov_b32_e32 v96, s7
	s_xor_b64 exec, exec, s[2:3]
	s_cbranch_execnz .LBB7_574
.LBB7_60:
	s_or_b64 exec, exec, s[2:3]
	s_and_saveexec_b64 s[2:3], s[0:1]
	s_cbranch_execz .LBB7_62
.LBB7_61:
	v_and_b32_e32 v96, 7, v97
	v_ffbh_u32_e32 v112, v96
	v_min_u32_e32 v112, 32, v112
	v_lshrrev_b16_e32 v111, 3, v97
	v_subrev_u32_e32 v113, 28, v112
	v_and_b32_e32 v111, 15, v111
	v_lshlrev_b32_e32 v113, v113, v96
	v_sub_u32_e32 v112, 29, v112
	v_and_b32_e32 v113, 7, v113
	v_cmp_eq_u16_e32 vcc, 0, v111
	v_lshrrev_b16_e32 v110, 7, v97
	v_cndmask_b32_e32 v96, v96, v113, vcc
	v_cndmask_b32_e32 v111, v111, v112, vcc
	v_mov_b32_e32 v112, 0x3b800000
	v_lshlrev_b32_e32 v96, 20, v96
	v_lshlrev_b32_e32 v110, 31, v110
	v_lshl_add_u32 v111, v111, 23, v112
	v_or3_b32 v96, v110, v111, v96
.LBB7_62:
	s_or_b64 exec, exec, s[2:3]
	s_movk_i32 s0, 0x7f
	v_cmp_gt_i16_sdwa s[2:3], v97, s0 src0_sel:BYTE_1 src1_sel:DWORD
	s_mov_b64 s[0:1], 0
                                        ; implicit-def: $sgpr7
	s_and_saveexec_b64 s[4:5], s[2:3]
	s_xor_b64 s[2:3], exec, s[4:5]
	s_cbranch_execnz .LBB7_575
; %bb.63:
	s_or_saveexec_b64 s[2:3], s[2:3]
	v_mov_b32_e32 v110, s7
	s_xor_b64 exec, exec, s[2:3]
	s_cbranch_execnz .LBB7_578
.LBB7_64:
	s_or_b64 exec, exec, s[2:3]
	s_and_saveexec_b64 s[2:3], s[0:1]
	s_cbranch_execz .LBB7_66
.LBB7_65:
	v_mov_b32_e32 v110, 7
	v_and_b32_sdwa v110, v97, v110 dst_sel:DWORD dst_unused:UNUSED_PAD src0_sel:BYTE_1 src1_sel:DWORD
	v_ffbh_u32_e32 v113, v110
	v_min_u32_e32 v113, 32, v113
	v_lshrrev_b16_e32 v112, 11, v97
	v_subrev_u32_e32 v114, 28, v113
	v_and_b32_e32 v112, 15, v112
	v_lshlrev_b32_e32 v114, v114, v110
	v_sub_u32_e32 v113, 29, v113
	v_and_b32_e32 v114, 7, v114
	v_cmp_eq_u16_e32 vcc, 0, v112
	v_lshrrev_b16_e32 v111, 15, v97
	v_cndmask_b32_e32 v110, v110, v114, vcc
	v_cndmask_b32_e32 v112, v112, v113, vcc
	v_mov_b32_e32 v113, 0x3b800000
	v_lshlrev_b32_e32 v110, 20, v110
	v_lshlrev_b32_e32 v111, 31, v111
	v_lshl_add_u32 v112, v112, 23, v113
	v_or3_b32 v110, v111, v112, v110
.LBB7_66:
	s_or_b64 exec, exec, s[2:3]
	s_movk_i32 s0, 0xff
	v_and_b32_sdwa v112, v97, s0 dst_sel:DWORD dst_unused:UNUSED_PAD src0_sel:WORD_1 src1_sel:DWORD
	s_movk_i32 s0, 0x7f
	v_cmp_lt_i16_e32 vcc, s0, v112
	s_mov_b64 s[0:1], 0
                                        ; implicit-def: $sgpr7
	s_and_saveexec_b64 s[2:3], vcc
	s_xor_b64 s[2:3], exec, s[2:3]
	s_cbranch_execnz .LBB7_579
; %bb.67:
	s_or_saveexec_b64 s[2:3], s[2:3]
	v_mov_b32_e32 v111, s7
	s_xor_b64 exec, exec, s[2:3]
	s_cbranch_execnz .LBB7_582
.LBB7_68:
	s_or_b64 exec, exec, s[2:3]
	s_and_saveexec_b64 s[2:3], s[0:1]
	s_cbranch_execz .LBB7_70
.LBB7_69:
	v_mov_b32_e32 v111, 7
	v_and_b32_sdwa v112, v97, v111 dst_sel:DWORD dst_unused:UNUSED_PAD src0_sel:WORD_1 src1_sel:DWORD
	v_ffbh_u32_e32 v114, v112
	v_mov_b32_e32 v113, 3
	v_min_u32_e32 v114, 32, v114
	v_lshrrev_b16_sdwa v113, v113, v97 dst_sel:DWORD dst_unused:UNUSED_PAD src0_sel:DWORD src1_sel:WORD_1
	v_subrev_u32_e32 v115, 28, v114
	v_and_b32_e32 v113, 15, v113
	v_lshlrev_b32_e32 v115, v115, v112
	v_sub_u32_e32 v114, 29, v114
	v_and_b32_e32 v115, 7, v115
	v_cmp_eq_u16_e32 vcc, 0, v113
	v_lshrrev_b16_sdwa v111, v111, v97 dst_sel:DWORD dst_unused:UNUSED_PAD src0_sel:DWORD src1_sel:WORD_1
	v_cndmask_b32_e32 v112, v112, v115, vcc
	v_cndmask_b32_e32 v113, v113, v114, vcc
	v_mov_b32_e32 v114, 0x3b800000
	v_lshlrev_b32_e32 v112, 20, v112
	v_lshlrev_b32_e32 v111, 31, v111
	v_lshl_add_u32 v113, v113, 23, v114
	v_or3_b32 v111, v111, v113, v112
.LBB7_70:
	s_or_b64 exec, exec, s[2:3]
	v_mov_b32_e32 v112, 8
	v_lshrrev_b16_sdwa v113, v112, v97 dst_sel:DWORD dst_unused:UNUSED_PAD src0_sel:DWORD src1_sel:WORD_1
	s_movk_i32 s0, 0x7f
	v_cmp_lt_i16_e32 vcc, s0, v113
	s_mov_b64 s[0:1], 0
                                        ; implicit-def: $sgpr7
	s_and_saveexec_b64 s[2:3], vcc
	s_xor_b64 s[2:3], exec, s[2:3]
	s_cbranch_execnz .LBB7_583
; %bb.71:
	s_or_saveexec_b64 s[2:3], s[2:3]
	v_mov_b32_e32 v112, s7
	s_xor_b64 exec, exec, s[2:3]
	s_cbranch_execnz .LBB7_586
.LBB7_72:
	s_or_b64 exec, exec, s[2:3]
	s_and_saveexec_b64 s[2:3], s[0:1]
	s_cbranch_execz .LBB7_74
.LBB7_73:
	v_mov_b32_e32 v112, 8
	v_lshrrev_b16_sdwa v112, v112, v97 dst_sel:DWORD dst_unused:UNUSED_PAD src0_sel:DWORD src1_sel:WORD_1
	v_and_b32_e32 v112, 7, v112
	v_mov_b32_e32 v113, 15
	v_mov_b32_e32 v114, 11
	v_lshrrev_b16_sdwa v113, v113, v97 dst_sel:DWORD dst_unused:UNUSED_PAD src0_sel:DWORD src1_sel:WORD_1
	v_lshrrev_b16_sdwa v97, v114, v97 dst_sel:DWORD dst_unused:UNUSED_PAD src0_sel:DWORD src1_sel:WORD_1
	v_ffbh_u32_e32 v114, v112
	v_min_u32_e32 v114, 32, v114
	v_subrev_u32_e32 v115, 28, v114
	v_and_b32_e32 v97, 15, v97
	v_lshlrev_b32_e32 v115, v115, v112
	v_sub_u32_e32 v114, 29, v114
	v_and_b32_e32 v115, 7, v115
	v_cmp_eq_u16_e32 vcc, 0, v97
	v_cndmask_b32_e32 v112, v112, v115, vcc
	v_cndmask_b32_e32 v97, v97, v114, vcc
	v_mov_b32_e32 v114, 0x3b800000
	v_lshlrev_b32_e32 v112, 20, v112
	v_lshlrev_b32_e32 v113, 31, v113
	v_lshl_add_u32 v97, v97, 23, v114
	v_or3_b32 v112, v113, v97, v112
.LBB7_74:
	s_or_b64 exec, exec, s[2:3]
	s_movk_i32 s0, 0x7f
	v_cmp_gt_i16_sdwa s[2:3], v90, s0 src0_sel:BYTE_0 src1_sel:DWORD
	s_mov_b64 s[0:1], 0
                                        ; implicit-def: $sgpr7
	s_and_saveexec_b64 s[4:5], s[2:3]
	s_xor_b64 s[2:3], exec, s[4:5]
	s_cbranch_execnz .LBB7_587
; %bb.75:
	s_or_saveexec_b64 s[2:3], s[2:3]
	v_mov_b32_e32 v97, s7
	s_xor_b64 exec, exec, s[2:3]
	s_cbranch_execnz .LBB7_590
.LBB7_76:
	s_or_b64 exec, exec, s[2:3]
	s_and_saveexec_b64 s[2:3], s[0:1]
	s_cbranch_execz .LBB7_78
.LBB7_77:
	v_and_b32_e32 v97, 7, v90
	v_ffbh_u32_e32 v115, v97
	v_min_u32_e32 v115, 32, v115
	v_lshrrev_b16_e32 v114, 3, v90
	v_subrev_u32_e32 v116, 28, v115
	v_and_b32_e32 v114, 15, v114
	v_lshlrev_b32_e32 v116, v116, v97
	v_sub_u32_e32 v115, 29, v115
	v_and_b32_e32 v116, 7, v116
	v_cmp_eq_u16_e32 vcc, 0, v114
	v_lshrrev_b16_e32 v113, 7, v90
	v_cndmask_b32_e32 v97, v97, v116, vcc
	v_cndmask_b32_e32 v114, v114, v115, vcc
	v_mov_b32_e32 v115, 0x3b800000
	v_lshlrev_b32_e32 v97, 20, v97
	v_lshlrev_b32_e32 v113, 31, v113
	v_lshl_add_u32 v114, v114, 23, v115
	v_or3_b32 v97, v113, v114, v97
.LBB7_78:
	s_or_b64 exec, exec, s[2:3]
	s_movk_i32 s0, 0x7f
	v_cmp_gt_i16_sdwa s[2:3], v90, s0 src0_sel:BYTE_1 src1_sel:DWORD
	s_mov_b64 s[0:1], 0
                                        ; implicit-def: $sgpr7
	s_and_saveexec_b64 s[4:5], s[2:3]
	s_xor_b64 s[2:3], exec, s[4:5]
	s_cbranch_execnz .LBB7_591
; %bb.79:
	s_or_saveexec_b64 s[2:3], s[2:3]
	v_mov_b32_e32 v113, s7
	s_xor_b64 exec, exec, s[2:3]
	s_cbranch_execnz .LBB7_594
.LBB7_80:
	s_or_b64 exec, exec, s[2:3]
	s_and_saveexec_b64 s[2:3], s[0:1]
	s_cbranch_execz .LBB7_82
.LBB7_81:
	v_mov_b32_e32 v113, 7
	v_and_b32_sdwa v113, v90, v113 dst_sel:DWORD dst_unused:UNUSED_PAD src0_sel:BYTE_1 src1_sel:DWORD
	v_ffbh_u32_e32 v116, v113
	v_min_u32_e32 v116, 32, v116
	v_lshrrev_b16_e32 v115, 11, v90
	v_subrev_u32_e32 v117, 28, v116
	v_and_b32_e32 v115, 15, v115
	v_lshlrev_b32_e32 v117, v117, v113
	v_sub_u32_e32 v116, 29, v116
	v_and_b32_e32 v117, 7, v117
	v_cmp_eq_u16_e32 vcc, 0, v115
	v_lshrrev_b16_e32 v114, 15, v90
	v_cndmask_b32_e32 v113, v113, v117, vcc
	v_cndmask_b32_e32 v115, v115, v116, vcc
	v_mov_b32_e32 v116, 0x3b800000
	v_lshlrev_b32_e32 v113, 20, v113
	v_lshlrev_b32_e32 v114, 31, v114
	v_lshl_add_u32 v115, v115, 23, v116
	v_or3_b32 v113, v114, v115, v113
.LBB7_82:
	s_or_b64 exec, exec, s[2:3]
	s_movk_i32 s0, 0xff
	v_and_b32_sdwa v115, v90, s0 dst_sel:DWORD dst_unused:UNUSED_PAD src0_sel:WORD_1 src1_sel:DWORD
	s_movk_i32 s0, 0x7f
	v_cmp_lt_i16_e32 vcc, s0, v115
	s_mov_b64 s[0:1], 0
                                        ; implicit-def: $sgpr7
	s_and_saveexec_b64 s[2:3], vcc
	s_xor_b64 s[2:3], exec, s[2:3]
	s_cbranch_execnz .LBB7_595
; %bb.83:
	s_or_saveexec_b64 s[2:3], s[2:3]
	v_mov_b32_e32 v114, s7
	s_xor_b64 exec, exec, s[2:3]
	s_cbranch_execnz .LBB7_598
.LBB7_84:
	s_or_b64 exec, exec, s[2:3]
	s_and_saveexec_b64 s[2:3], s[0:1]
	s_cbranch_execz .LBB7_86
.LBB7_85:
	v_mov_b32_e32 v114, 7
	v_and_b32_sdwa v115, v90, v114 dst_sel:DWORD dst_unused:UNUSED_PAD src0_sel:WORD_1 src1_sel:DWORD
	v_ffbh_u32_e32 v117, v115
	v_mov_b32_e32 v116, 3
	v_min_u32_e32 v117, 32, v117
	v_lshrrev_b16_sdwa v116, v116, v90 dst_sel:DWORD dst_unused:UNUSED_PAD src0_sel:DWORD src1_sel:WORD_1
	v_subrev_u32_e32 v118, 28, v117
	v_and_b32_e32 v116, 15, v116
	v_lshlrev_b32_e32 v118, v118, v115
	v_sub_u32_e32 v117, 29, v117
	v_and_b32_e32 v118, 7, v118
	v_cmp_eq_u16_e32 vcc, 0, v116
	v_lshrrev_b16_sdwa v114, v114, v90 dst_sel:DWORD dst_unused:UNUSED_PAD src0_sel:DWORD src1_sel:WORD_1
	v_cndmask_b32_e32 v115, v115, v118, vcc
	v_cndmask_b32_e32 v116, v116, v117, vcc
	v_mov_b32_e32 v117, 0x3b800000
	v_lshlrev_b32_e32 v115, 20, v115
	v_lshlrev_b32_e32 v114, 31, v114
	v_lshl_add_u32 v116, v116, 23, v117
	v_or3_b32 v114, v114, v116, v115
.LBB7_86:
	s_or_b64 exec, exec, s[2:3]
	v_mov_b32_e32 v115, 8
	v_lshrrev_b16_sdwa v116, v115, v90 dst_sel:DWORD dst_unused:UNUSED_PAD src0_sel:DWORD src1_sel:WORD_1
	s_movk_i32 s0, 0x7f
	v_cmp_lt_i16_e32 vcc, s0, v116
	s_mov_b64 s[0:1], 0
                                        ; implicit-def: $sgpr7
	s_and_saveexec_b64 s[2:3], vcc
	s_xor_b64 s[2:3], exec, s[2:3]
	s_cbranch_execnz .LBB7_599
; %bb.87:
	s_or_saveexec_b64 s[2:3], s[2:3]
	v_mov_b32_e32 v115, s7
	s_xor_b64 exec, exec, s[2:3]
	s_cbranch_execnz .LBB7_602
.LBB7_88:
	s_or_b64 exec, exec, s[2:3]
	s_and_saveexec_b64 s[2:3], s[0:1]
	s_cbranch_execz .LBB7_90
.LBB7_89:
	v_mov_b32_e32 v115, 8
	v_lshrrev_b16_sdwa v115, v115, v90 dst_sel:DWORD dst_unused:UNUSED_PAD src0_sel:DWORD src1_sel:WORD_1
	v_and_b32_e32 v115, 7, v115
	v_mov_b32_e32 v116, 15
	v_mov_b32_e32 v117, 11
	v_lshrrev_b16_sdwa v116, v116, v90 dst_sel:DWORD dst_unused:UNUSED_PAD src0_sel:DWORD src1_sel:WORD_1
	v_lshrrev_b16_sdwa v90, v117, v90 dst_sel:DWORD dst_unused:UNUSED_PAD src0_sel:DWORD src1_sel:WORD_1
	v_ffbh_u32_e32 v117, v115
	v_min_u32_e32 v117, 32, v117
	v_subrev_u32_e32 v118, 28, v117
	v_and_b32_e32 v90, 15, v90
	v_lshlrev_b32_e32 v118, v118, v115
	v_sub_u32_e32 v117, 29, v117
	v_and_b32_e32 v118, 7, v118
	v_cmp_eq_u16_e32 vcc, 0, v90
	v_cndmask_b32_e32 v115, v115, v118, vcc
	v_cndmask_b32_e32 v90, v90, v117, vcc
	v_mov_b32_e32 v117, 0x3b800000
	v_lshlrev_b32_e32 v115, 20, v115
	v_lshlrev_b32_e32 v116, 31, v116
	v_lshl_add_u32 v90, v90, 23, v117
	v_or3_b32 v115, v116, v90, v115
.LBB7_90:
	s_or_b64 exec, exec, s[2:3]
	s_movk_i32 s0, 0x7f
	v_cmp_gt_i16_sdwa s[2:3], v91, s0 src0_sel:BYTE_0 src1_sel:DWORD
	s_mov_b64 s[0:1], 0
                                        ; implicit-def: $sgpr7
	s_and_saveexec_b64 s[4:5], s[2:3]
	s_xor_b64 s[2:3], exec, s[4:5]
	s_cbranch_execnz .LBB7_603
; %bb.91:
	s_or_saveexec_b64 s[2:3], s[2:3]
	v_mov_b32_e32 v90, s7
	s_xor_b64 exec, exec, s[2:3]
	s_cbranch_execnz .LBB7_606
.LBB7_92:
	s_or_b64 exec, exec, s[2:3]
	s_and_saveexec_b64 s[2:3], s[0:1]
	s_cbranch_execz .LBB7_94
.LBB7_93:
	v_and_b32_e32 v90, 7, v91
	v_ffbh_u32_e32 v118, v90
	v_min_u32_e32 v118, 32, v118
	v_lshrrev_b16_e32 v117, 3, v91
	v_subrev_u32_e32 v119, 28, v118
	v_and_b32_e32 v117, 15, v117
	v_lshlrev_b32_e32 v119, v119, v90
	v_sub_u32_e32 v118, 29, v118
	v_and_b32_e32 v119, 7, v119
	v_cmp_eq_u16_e32 vcc, 0, v117
	v_lshrrev_b16_e32 v116, 7, v91
	v_cndmask_b32_e32 v90, v90, v119, vcc
	v_cndmask_b32_e32 v117, v117, v118, vcc
	v_mov_b32_e32 v118, 0x3b800000
	v_lshlrev_b32_e32 v90, 20, v90
	v_lshlrev_b32_e32 v116, 31, v116
	v_lshl_add_u32 v117, v117, 23, v118
	v_or3_b32 v90, v116, v117, v90
.LBB7_94:
	s_or_b64 exec, exec, s[2:3]
	s_movk_i32 s0, 0x7f
	v_cmp_gt_i16_sdwa s[2:3], v91, s0 src0_sel:BYTE_1 src1_sel:DWORD
	s_mov_b64 s[0:1], 0
                                        ; implicit-def: $sgpr7
	s_and_saveexec_b64 s[4:5], s[2:3]
	s_xor_b64 s[2:3], exec, s[4:5]
	s_cbranch_execnz .LBB7_607
; %bb.95:
	s_or_saveexec_b64 s[2:3], s[2:3]
	v_mov_b32_e32 v116, s7
	s_xor_b64 exec, exec, s[2:3]
	s_cbranch_execnz .LBB7_610
.LBB7_96:
	s_or_b64 exec, exec, s[2:3]
	s_and_saveexec_b64 s[2:3], s[0:1]
	s_cbranch_execz .LBB7_98
.LBB7_97:
	v_mov_b32_e32 v116, 7
	v_and_b32_sdwa v116, v91, v116 dst_sel:DWORD dst_unused:UNUSED_PAD src0_sel:BYTE_1 src1_sel:DWORD
	v_ffbh_u32_e32 v119, v116
	v_min_u32_e32 v119, 32, v119
	v_lshrrev_b16_e32 v118, 11, v91
	v_subrev_u32_e32 v120, 28, v119
	v_and_b32_e32 v118, 15, v118
	v_lshlrev_b32_e32 v120, v120, v116
	v_sub_u32_e32 v119, 29, v119
	v_and_b32_e32 v120, 7, v120
	v_cmp_eq_u16_e32 vcc, 0, v118
	v_lshrrev_b16_e32 v117, 15, v91
	v_cndmask_b32_e32 v116, v116, v120, vcc
	v_cndmask_b32_e32 v118, v118, v119, vcc
	v_mov_b32_e32 v119, 0x3b800000
	v_lshlrev_b32_e32 v116, 20, v116
	v_lshlrev_b32_e32 v117, 31, v117
	v_lshl_add_u32 v118, v118, 23, v119
	v_or3_b32 v116, v117, v118, v116
.LBB7_98:
	s_or_b64 exec, exec, s[2:3]
	s_movk_i32 s0, 0xff
	v_and_b32_sdwa v118, v91, s0 dst_sel:DWORD dst_unused:UNUSED_PAD src0_sel:WORD_1 src1_sel:DWORD
	s_movk_i32 s0, 0x7f
	v_cmp_lt_i16_e32 vcc, s0, v118
	s_mov_b64 s[0:1], 0
                                        ; implicit-def: $sgpr7
	s_and_saveexec_b64 s[2:3], vcc
	s_xor_b64 s[2:3], exec, s[2:3]
	s_cbranch_execnz .LBB7_611
; %bb.99:
	s_or_saveexec_b64 s[2:3], s[2:3]
	v_mov_b32_e32 v117, s7
	s_xor_b64 exec, exec, s[2:3]
	s_cbranch_execnz .LBB7_614
.LBB7_100:
	s_or_b64 exec, exec, s[2:3]
	s_and_saveexec_b64 s[2:3], s[0:1]
	s_cbranch_execz .LBB7_102
.LBB7_101:
	v_mov_b32_e32 v117, 7
	v_and_b32_sdwa v118, v91, v117 dst_sel:DWORD dst_unused:UNUSED_PAD src0_sel:WORD_1 src1_sel:DWORD
	v_ffbh_u32_e32 v120, v118
	v_mov_b32_e32 v119, 3
	v_min_u32_e32 v120, 32, v120
	v_lshrrev_b16_sdwa v119, v119, v91 dst_sel:DWORD dst_unused:UNUSED_PAD src0_sel:DWORD src1_sel:WORD_1
	v_subrev_u32_e32 v121, 28, v120
	v_and_b32_e32 v119, 15, v119
	v_lshlrev_b32_e32 v121, v121, v118
	v_sub_u32_e32 v120, 29, v120
	v_and_b32_e32 v121, 7, v121
	v_cmp_eq_u16_e32 vcc, 0, v119
	v_lshrrev_b16_sdwa v117, v117, v91 dst_sel:DWORD dst_unused:UNUSED_PAD src0_sel:DWORD src1_sel:WORD_1
	v_cndmask_b32_e32 v118, v118, v121, vcc
	v_cndmask_b32_e32 v119, v119, v120, vcc
	v_mov_b32_e32 v120, 0x3b800000
	v_lshlrev_b32_e32 v118, 20, v118
	v_lshlrev_b32_e32 v117, 31, v117
	v_lshl_add_u32 v119, v119, 23, v120
	v_or3_b32 v117, v117, v119, v118
.LBB7_102:
	s_or_b64 exec, exec, s[2:3]
	v_mov_b32_e32 v118, 8
	v_lshrrev_b16_sdwa v119, v118, v91 dst_sel:DWORD dst_unused:UNUSED_PAD src0_sel:DWORD src1_sel:WORD_1
	s_movk_i32 s0, 0x7f
	v_cmp_lt_i16_e32 vcc, s0, v119
	s_mov_b64 s[0:1], 0
                                        ; implicit-def: $sgpr7
	s_and_saveexec_b64 s[2:3], vcc
	s_xor_b64 s[2:3], exec, s[2:3]
	s_cbranch_execnz .LBB7_615
; %bb.103:
	s_or_saveexec_b64 s[2:3], s[2:3]
	v_mov_b32_e32 v118, s7
	s_xor_b64 exec, exec, s[2:3]
	s_cbranch_execnz .LBB7_618
.LBB7_104:
	s_or_b64 exec, exec, s[2:3]
	s_and_saveexec_b64 s[2:3], s[0:1]
	s_cbranch_execz .LBB7_106
.LBB7_105:
	v_mov_b32_e32 v118, 8
	v_lshrrev_b16_sdwa v118, v118, v91 dst_sel:DWORD dst_unused:UNUSED_PAD src0_sel:DWORD src1_sel:WORD_1
	v_and_b32_e32 v118, 7, v118
	v_mov_b32_e32 v119, 15
	v_mov_b32_e32 v120, 11
	v_lshrrev_b16_sdwa v119, v119, v91 dst_sel:DWORD dst_unused:UNUSED_PAD src0_sel:DWORD src1_sel:WORD_1
	v_lshrrev_b16_sdwa v91, v120, v91 dst_sel:DWORD dst_unused:UNUSED_PAD src0_sel:DWORD src1_sel:WORD_1
	v_ffbh_u32_e32 v120, v118
	v_min_u32_e32 v120, 32, v120
	v_subrev_u32_e32 v121, 28, v120
	v_and_b32_e32 v91, 15, v91
	v_lshlrev_b32_e32 v121, v121, v118
	v_sub_u32_e32 v120, 29, v120
	v_and_b32_e32 v121, 7, v121
	v_cmp_eq_u16_e32 vcc, 0, v91
	v_cndmask_b32_e32 v118, v118, v121, vcc
	v_cndmask_b32_e32 v91, v91, v120, vcc
	v_mov_b32_e32 v120, 0x3b800000
	v_lshlrev_b32_e32 v118, 20, v118
	v_lshlrev_b32_e32 v119, 31, v119
	v_lshl_add_u32 v91, v91, 23, v120
	v_or3_b32 v118, v119, v91, v118
.LBB7_106:
	s_or_b64 exec, exec, s[2:3]
	s_movk_i32 s0, 0x7f
	v_cmp_gt_i16_sdwa s[2:3], v92, s0 src0_sel:BYTE_0 src1_sel:DWORD
	s_mov_b64 s[0:1], 0
                                        ; implicit-def: $sgpr7
	s_and_saveexec_b64 s[4:5], s[2:3]
	s_xor_b64 s[2:3], exec, s[4:5]
	s_cbranch_execnz .LBB7_619
; %bb.107:
	s_or_saveexec_b64 s[2:3], s[2:3]
	v_mov_b32_e32 v91, s7
	s_xor_b64 exec, exec, s[2:3]
	s_cbranch_execnz .LBB7_622
.LBB7_108:
	s_or_b64 exec, exec, s[2:3]
	s_and_saveexec_b64 s[2:3], s[0:1]
	s_cbranch_execz .LBB7_110
.LBB7_109:
	v_and_b32_e32 v91, 7, v92
	v_ffbh_u32_e32 v121, v91
	v_min_u32_e32 v121, 32, v121
	v_lshrrev_b16_e32 v120, 3, v92
	v_subrev_u32_e32 v122, 28, v121
	v_and_b32_e32 v120, 15, v120
	v_lshlrev_b32_e32 v122, v122, v91
	v_sub_u32_e32 v121, 29, v121
	v_and_b32_e32 v122, 7, v122
	v_cmp_eq_u16_e32 vcc, 0, v120
	v_lshrrev_b16_e32 v119, 7, v92
	v_cndmask_b32_e32 v91, v91, v122, vcc
	v_cndmask_b32_e32 v120, v120, v121, vcc
	v_mov_b32_e32 v121, 0x3b800000
	v_lshlrev_b32_e32 v91, 20, v91
	v_lshlrev_b32_e32 v119, 31, v119
	v_lshl_add_u32 v120, v120, 23, v121
	v_or3_b32 v91, v119, v120, v91
.LBB7_110:
	s_or_b64 exec, exec, s[2:3]
	s_movk_i32 s0, 0x7f
	v_cmp_gt_i16_sdwa s[2:3], v92, s0 src0_sel:BYTE_1 src1_sel:DWORD
	s_mov_b64 s[0:1], 0
                                        ; implicit-def: $sgpr7
	s_and_saveexec_b64 s[4:5], s[2:3]
	s_xor_b64 s[2:3], exec, s[4:5]
	s_cbranch_execnz .LBB7_623
; %bb.111:
	s_or_saveexec_b64 s[2:3], s[2:3]
	v_mov_b32_e32 v119, s7
	s_xor_b64 exec, exec, s[2:3]
	s_cbranch_execnz .LBB7_626
.LBB7_112:
	s_or_b64 exec, exec, s[2:3]
	s_and_saveexec_b64 s[2:3], s[0:1]
	s_cbranch_execz .LBB7_114
.LBB7_113:
	v_mov_b32_e32 v119, 7
	v_and_b32_sdwa v119, v92, v119 dst_sel:DWORD dst_unused:UNUSED_PAD src0_sel:BYTE_1 src1_sel:DWORD
	v_ffbh_u32_e32 v122, v119
	v_min_u32_e32 v122, 32, v122
	v_lshrrev_b16_e32 v121, 11, v92
	v_subrev_u32_e32 v123, 28, v122
	v_and_b32_e32 v121, 15, v121
	v_lshlrev_b32_e32 v123, v123, v119
	v_sub_u32_e32 v122, 29, v122
	v_and_b32_e32 v123, 7, v123
	v_cmp_eq_u16_e32 vcc, 0, v121
	v_lshrrev_b16_e32 v120, 15, v92
	v_cndmask_b32_e32 v119, v119, v123, vcc
	v_cndmask_b32_e32 v121, v121, v122, vcc
	v_mov_b32_e32 v122, 0x3b800000
	v_lshlrev_b32_e32 v119, 20, v119
	v_lshlrev_b32_e32 v120, 31, v120
	v_lshl_add_u32 v121, v121, 23, v122
	v_or3_b32 v119, v120, v121, v119
.LBB7_114:
	s_or_b64 exec, exec, s[2:3]
	s_movk_i32 s0, 0xff
	v_and_b32_sdwa v121, v92, s0 dst_sel:DWORD dst_unused:UNUSED_PAD src0_sel:WORD_1 src1_sel:DWORD
	s_movk_i32 s0, 0x7f
	v_cmp_lt_i16_e32 vcc, s0, v121
	s_mov_b64 s[0:1], 0
                                        ; implicit-def: $sgpr7
	s_and_saveexec_b64 s[2:3], vcc
	s_xor_b64 s[2:3], exec, s[2:3]
	s_cbranch_execnz .LBB7_627
; %bb.115:
	s_or_saveexec_b64 s[2:3], s[2:3]
	v_mov_b32_e32 v120, s7
	s_xor_b64 exec, exec, s[2:3]
	s_cbranch_execnz .LBB7_630
.LBB7_116:
	s_or_b64 exec, exec, s[2:3]
	s_and_saveexec_b64 s[2:3], s[0:1]
	s_cbranch_execz .LBB7_118
.LBB7_117:
	v_mov_b32_e32 v120, 7
	v_and_b32_sdwa v121, v92, v120 dst_sel:DWORD dst_unused:UNUSED_PAD src0_sel:WORD_1 src1_sel:DWORD
	v_ffbh_u32_e32 v123, v121
	v_mov_b32_e32 v122, 3
	v_min_u32_e32 v123, 32, v123
	v_lshrrev_b16_sdwa v122, v122, v92 dst_sel:DWORD dst_unused:UNUSED_PAD src0_sel:DWORD src1_sel:WORD_1
	v_subrev_u32_e32 v124, 28, v123
	v_and_b32_e32 v122, 15, v122
	v_lshlrev_b32_e32 v124, v124, v121
	v_sub_u32_e32 v123, 29, v123
	v_and_b32_e32 v124, 7, v124
	v_cmp_eq_u16_e32 vcc, 0, v122
	v_lshrrev_b16_sdwa v120, v120, v92 dst_sel:DWORD dst_unused:UNUSED_PAD src0_sel:DWORD src1_sel:WORD_1
	v_cndmask_b32_e32 v121, v121, v124, vcc
	v_cndmask_b32_e32 v122, v122, v123, vcc
	v_mov_b32_e32 v123, 0x3b800000
	v_lshlrev_b32_e32 v121, 20, v121
	v_lshlrev_b32_e32 v120, 31, v120
	v_lshl_add_u32 v122, v122, 23, v123
	v_or3_b32 v120, v120, v122, v121
.LBB7_118:
	s_or_b64 exec, exec, s[2:3]
	v_mov_b32_e32 v121, 8
	v_lshrrev_b16_sdwa v122, v121, v92 dst_sel:DWORD dst_unused:UNUSED_PAD src0_sel:DWORD src1_sel:WORD_1
	s_movk_i32 s0, 0x7f
	v_cmp_lt_i16_e32 vcc, s0, v122
	s_mov_b64 s[0:1], 0
                                        ; implicit-def: $sgpr7
	s_and_saveexec_b64 s[2:3], vcc
	s_xor_b64 s[2:3], exec, s[2:3]
	s_cbranch_execnz .LBB7_631
; %bb.119:
	s_or_saveexec_b64 s[2:3], s[2:3]
	v_mov_b32_e32 v121, s7
	s_xor_b64 exec, exec, s[2:3]
	s_cbranch_execnz .LBB7_634
.LBB7_120:
	s_or_b64 exec, exec, s[2:3]
	s_and_saveexec_b64 s[2:3], s[0:1]
	s_cbranch_execz .LBB7_122
.LBB7_121:
	v_mov_b32_e32 v121, 8
	v_lshrrev_b16_sdwa v121, v121, v92 dst_sel:DWORD dst_unused:UNUSED_PAD src0_sel:DWORD src1_sel:WORD_1
	v_and_b32_e32 v121, 7, v121
	v_mov_b32_e32 v122, 15
	v_mov_b32_e32 v123, 11
	v_lshrrev_b16_sdwa v122, v122, v92 dst_sel:DWORD dst_unused:UNUSED_PAD src0_sel:DWORD src1_sel:WORD_1
	v_lshrrev_b16_sdwa v92, v123, v92 dst_sel:DWORD dst_unused:UNUSED_PAD src0_sel:DWORD src1_sel:WORD_1
	v_ffbh_u32_e32 v123, v121
	v_min_u32_e32 v123, 32, v123
	v_subrev_u32_e32 v124, 28, v123
	v_and_b32_e32 v92, 15, v92
	v_lshlrev_b32_e32 v124, v124, v121
	v_sub_u32_e32 v123, 29, v123
	v_and_b32_e32 v124, 7, v124
	v_cmp_eq_u16_e32 vcc, 0, v92
	v_cndmask_b32_e32 v121, v121, v124, vcc
	v_cndmask_b32_e32 v92, v92, v123, vcc
	v_mov_b32_e32 v123, 0x3b800000
	v_lshlrev_b32_e32 v121, 20, v121
	v_lshlrev_b32_e32 v122, 31, v122
	v_lshl_add_u32 v92, v92, 23, v123
	v_or3_b32 v121, v122, v92, v121
.LBB7_122:
	s_or_b64 exec, exec, s[2:3]
	s_movk_i32 s0, 0x7f
	v_cmp_gt_i16_sdwa s[2:3], v93, s0 src0_sel:BYTE_0 src1_sel:DWORD
	s_mov_b64 s[0:1], 0
                                        ; implicit-def: $sgpr7
	s_and_saveexec_b64 s[4:5], s[2:3]
	s_xor_b64 s[2:3], exec, s[4:5]
	s_cbranch_execnz .LBB7_635
; %bb.123:
	s_or_saveexec_b64 s[2:3], s[2:3]
	v_mov_b32_e32 v92, s7
	s_xor_b64 exec, exec, s[2:3]
	s_cbranch_execnz .LBB7_638
.LBB7_124:
	s_or_b64 exec, exec, s[2:3]
	s_and_saveexec_b64 s[2:3], s[0:1]
	s_cbranch_execz .LBB7_126
.LBB7_125:
	v_and_b32_e32 v92, 7, v93
	v_ffbh_u32_e32 v124, v92
	v_min_u32_e32 v124, 32, v124
	v_lshrrev_b16_e32 v123, 3, v93
	v_subrev_u32_e32 v125, 28, v124
	v_and_b32_e32 v123, 15, v123
	v_lshlrev_b32_e32 v125, v125, v92
	v_sub_u32_e32 v124, 29, v124
	v_and_b32_e32 v125, 7, v125
	v_cmp_eq_u16_e32 vcc, 0, v123
	v_lshrrev_b16_e32 v122, 7, v93
	v_cndmask_b32_e32 v92, v92, v125, vcc
	v_cndmask_b32_e32 v123, v123, v124, vcc
	v_mov_b32_e32 v124, 0x3b800000
	v_lshlrev_b32_e32 v92, 20, v92
	v_lshlrev_b32_e32 v122, 31, v122
	v_lshl_add_u32 v123, v123, 23, v124
	v_or3_b32 v92, v122, v123, v92
.LBB7_126:
	s_or_b64 exec, exec, s[2:3]
	s_movk_i32 s0, 0x7f
	v_cmp_gt_i16_sdwa s[2:3], v93, s0 src0_sel:BYTE_1 src1_sel:DWORD
	s_mov_b64 s[0:1], 0
                                        ; implicit-def: $sgpr7
	s_and_saveexec_b64 s[4:5], s[2:3]
	s_xor_b64 s[2:3], exec, s[4:5]
	s_cbranch_execnz .LBB7_639
; %bb.127:
	s_or_saveexec_b64 s[2:3], s[2:3]
	v_mov_b32_e32 v122, s7
	s_xor_b64 exec, exec, s[2:3]
	s_cbranch_execnz .LBB7_642
.LBB7_128:
	s_or_b64 exec, exec, s[2:3]
	s_and_saveexec_b64 s[2:3], s[0:1]
	s_cbranch_execz .LBB7_130
.LBB7_129:
	v_mov_b32_e32 v122, 7
	v_and_b32_sdwa v122, v93, v122 dst_sel:DWORD dst_unused:UNUSED_PAD src0_sel:BYTE_1 src1_sel:DWORD
	v_ffbh_u32_e32 v125, v122
	v_min_u32_e32 v125, 32, v125
	v_lshrrev_b16_e32 v124, 11, v93
	v_subrev_u32_e32 v126, 28, v125
	v_and_b32_e32 v124, 15, v124
	v_lshlrev_b32_e32 v126, v126, v122
	v_sub_u32_e32 v125, 29, v125
	v_and_b32_e32 v126, 7, v126
	v_cmp_eq_u16_e32 vcc, 0, v124
	v_lshrrev_b16_e32 v123, 15, v93
	v_cndmask_b32_e32 v122, v122, v126, vcc
	v_cndmask_b32_e32 v124, v124, v125, vcc
	v_mov_b32_e32 v125, 0x3b800000
	v_lshlrev_b32_e32 v122, 20, v122
	v_lshlrev_b32_e32 v123, 31, v123
	v_lshl_add_u32 v124, v124, 23, v125
	v_or3_b32 v122, v123, v124, v122
.LBB7_130:
	s_or_b64 exec, exec, s[2:3]
	s_movk_i32 s0, 0xff
	v_and_b32_sdwa v124, v93, s0 dst_sel:DWORD dst_unused:UNUSED_PAD src0_sel:WORD_1 src1_sel:DWORD
	s_movk_i32 s0, 0x7f
	v_cmp_lt_i16_e32 vcc, s0, v124
	s_mov_b64 s[0:1], 0
                                        ; implicit-def: $sgpr7
	s_and_saveexec_b64 s[2:3], vcc
	s_xor_b64 s[2:3], exec, s[2:3]
	s_cbranch_execnz .LBB7_643
; %bb.131:
	s_or_saveexec_b64 s[2:3], s[2:3]
	v_mov_b32_e32 v123, s7
	s_xor_b64 exec, exec, s[2:3]
	s_cbranch_execnz .LBB7_646
.LBB7_132:
	s_or_b64 exec, exec, s[2:3]
	s_and_saveexec_b64 s[2:3], s[0:1]
	s_cbranch_execz .LBB7_134
.LBB7_133:
	v_mov_b32_e32 v123, 7
	v_and_b32_sdwa v124, v93, v123 dst_sel:DWORD dst_unused:UNUSED_PAD src0_sel:WORD_1 src1_sel:DWORD
	v_ffbh_u32_e32 v126, v124
	v_mov_b32_e32 v125, 3
	v_min_u32_e32 v126, 32, v126
	v_lshrrev_b16_sdwa v125, v125, v93 dst_sel:DWORD dst_unused:UNUSED_PAD src0_sel:DWORD src1_sel:WORD_1
	v_subrev_u32_e32 v127, 28, v126
	v_and_b32_e32 v125, 15, v125
	v_lshlrev_b32_e32 v127, v127, v124
	v_sub_u32_e32 v126, 29, v126
	v_and_b32_e32 v127, 7, v127
	v_cmp_eq_u16_e32 vcc, 0, v125
	v_lshrrev_b16_sdwa v123, v123, v93 dst_sel:DWORD dst_unused:UNUSED_PAD src0_sel:DWORD src1_sel:WORD_1
	v_cndmask_b32_e32 v124, v124, v127, vcc
	v_cndmask_b32_e32 v125, v125, v126, vcc
	v_mov_b32_e32 v126, 0x3b800000
	v_lshlrev_b32_e32 v124, 20, v124
	v_lshlrev_b32_e32 v123, 31, v123
	v_lshl_add_u32 v125, v125, 23, v126
	v_or3_b32 v123, v123, v125, v124
.LBB7_134:
	s_or_b64 exec, exec, s[2:3]
	v_mov_b32_e32 v124, 8
	v_lshrrev_b16_sdwa v125, v124, v93 dst_sel:DWORD dst_unused:UNUSED_PAD src0_sel:DWORD src1_sel:WORD_1
	s_movk_i32 s0, 0x7f
	v_cmp_lt_i16_e32 vcc, s0, v125
	s_mov_b64 s[0:1], 0
                                        ; implicit-def: $sgpr7
	s_and_saveexec_b64 s[2:3], vcc
	s_xor_b64 s[2:3], exec, s[2:3]
	s_cbranch_execnz .LBB7_647
; %bb.135:
	s_or_saveexec_b64 s[2:3], s[2:3]
	v_mov_b32_e32 v124, s7
	s_xor_b64 exec, exec, s[2:3]
	s_cbranch_execnz .LBB7_650
.LBB7_136:
	s_or_b64 exec, exec, s[2:3]
	s_and_saveexec_b64 s[2:3], s[0:1]
	s_cbranch_execz .LBB7_138
.LBB7_137:
	v_mov_b32_e32 v124, 8
	v_lshrrev_b16_sdwa v124, v124, v93 dst_sel:DWORD dst_unused:UNUSED_PAD src0_sel:DWORD src1_sel:WORD_1
	v_and_b32_e32 v124, 7, v124
	v_mov_b32_e32 v125, 15
	v_mov_b32_e32 v126, 11
	v_lshrrev_b16_sdwa v125, v125, v93 dst_sel:DWORD dst_unused:UNUSED_PAD src0_sel:DWORD src1_sel:WORD_1
	v_lshrrev_b16_sdwa v93, v126, v93 dst_sel:DWORD dst_unused:UNUSED_PAD src0_sel:DWORD src1_sel:WORD_1
	v_ffbh_u32_e32 v126, v124
	v_min_u32_e32 v126, 32, v126
	v_subrev_u32_e32 v127, 28, v126
	v_and_b32_e32 v93, 15, v93
	v_lshlrev_b32_e32 v127, v127, v124
	v_sub_u32_e32 v126, 29, v126
	v_and_b32_e32 v127, 7, v127
	v_cmp_eq_u16_e32 vcc, 0, v93
	v_cndmask_b32_e32 v124, v124, v127, vcc
	v_cndmask_b32_e32 v93, v93, v126, vcc
	v_mov_b32_e32 v126, 0x3b800000
	v_lshlrev_b32_e32 v124, 20, v124
	v_lshlrev_b32_e32 v125, 31, v125
	v_lshl_add_u32 v93, v93, 23, v126
	v_or3_b32 v124, v125, v93, v124
.LBB7_138:
	s_or_b64 exec, exec, s[2:3]
	s_movk_i32 s0, 0x7f
	v_cmp_gt_i16_sdwa s[2:3], v86, s0 src0_sel:BYTE_0 src1_sel:DWORD
	s_mov_b64 s[0:1], 0
                                        ; implicit-def: $sgpr7
	s_and_saveexec_b64 s[4:5], s[2:3]
	s_xor_b64 s[2:3], exec, s[4:5]
	s_cbranch_execnz .LBB7_651
; %bb.139:
	s_or_saveexec_b64 s[2:3], s[2:3]
	v_mov_b32_e32 v93, s7
	s_xor_b64 exec, exec, s[2:3]
	s_cbranch_execnz .LBB7_654
.LBB7_140:
	s_or_b64 exec, exec, s[2:3]
	s_and_saveexec_b64 s[2:3], s[0:1]
	s_cbranch_execz .LBB7_142
.LBB7_141:
	v_and_b32_e32 v93, 7, v86
	v_ffbh_u32_e32 v127, v93
	v_min_u32_e32 v127, 32, v127
	v_lshrrev_b16_e32 v126, 3, v86
	v_subrev_u32_e32 v128, 28, v127
	v_and_b32_e32 v126, 15, v126
	v_lshlrev_b32_e32 v128, v128, v93
	v_sub_u32_e32 v127, 29, v127
	v_and_b32_e32 v128, 7, v128
	v_cmp_eq_u16_e32 vcc, 0, v126
	v_lshrrev_b16_e32 v125, 7, v86
	v_cndmask_b32_e32 v93, v93, v128, vcc
	v_cndmask_b32_e32 v126, v126, v127, vcc
	v_mov_b32_e32 v127, 0x3b800000
	v_lshlrev_b32_e32 v93, 20, v93
	v_lshlrev_b32_e32 v125, 31, v125
	v_lshl_add_u32 v126, v126, 23, v127
	v_or3_b32 v93, v125, v126, v93
.LBB7_142:
	s_or_b64 exec, exec, s[2:3]
	s_movk_i32 s0, 0x7f
	v_cmp_gt_i16_sdwa s[2:3], v86, s0 src0_sel:BYTE_1 src1_sel:DWORD
	s_mov_b64 s[0:1], 0
                                        ; implicit-def: $sgpr7
	s_and_saveexec_b64 s[4:5], s[2:3]
	s_xor_b64 s[2:3], exec, s[4:5]
	s_cbranch_execnz .LBB7_655
; %bb.143:
	s_or_saveexec_b64 s[2:3], s[2:3]
	v_mov_b32_e32 v125, s7
	s_xor_b64 exec, exec, s[2:3]
	s_cbranch_execnz .LBB7_658
.LBB7_144:
	s_or_b64 exec, exec, s[2:3]
	s_and_saveexec_b64 s[2:3], s[0:1]
	s_cbranch_execz .LBB7_146
.LBB7_145:
	v_mov_b32_e32 v125, 7
	v_and_b32_sdwa v125, v86, v125 dst_sel:DWORD dst_unused:UNUSED_PAD src0_sel:BYTE_1 src1_sel:DWORD
	v_ffbh_u32_e32 v128, v125
	v_min_u32_e32 v128, 32, v128
	v_lshrrev_b16_e32 v127, 11, v86
	v_subrev_u32_e32 v129, 28, v128
	v_and_b32_e32 v127, 15, v127
	v_lshlrev_b32_e32 v129, v129, v125
	v_sub_u32_e32 v128, 29, v128
	v_and_b32_e32 v129, 7, v129
	v_cmp_eq_u16_e32 vcc, 0, v127
	v_lshrrev_b16_e32 v126, 15, v86
	v_cndmask_b32_e32 v125, v125, v129, vcc
	v_cndmask_b32_e32 v127, v127, v128, vcc
	v_mov_b32_e32 v128, 0x3b800000
	v_lshlrev_b32_e32 v125, 20, v125
	v_lshlrev_b32_e32 v126, 31, v126
	v_lshl_add_u32 v127, v127, 23, v128
	v_or3_b32 v125, v126, v127, v125
.LBB7_146:
	s_or_b64 exec, exec, s[2:3]
	s_movk_i32 s0, 0xff
	v_and_b32_sdwa v127, v86, s0 dst_sel:DWORD dst_unused:UNUSED_PAD src0_sel:WORD_1 src1_sel:DWORD
	s_movk_i32 s0, 0x7f
	v_cmp_lt_i16_e32 vcc, s0, v127
	s_mov_b64 s[0:1], 0
                                        ; implicit-def: $sgpr7
	s_and_saveexec_b64 s[2:3], vcc
	s_xor_b64 s[2:3], exec, s[2:3]
	s_cbranch_execnz .LBB7_659
; %bb.147:
	s_or_saveexec_b64 s[2:3], s[2:3]
	v_mov_b32_e32 v126, s7
	s_xor_b64 exec, exec, s[2:3]
	s_cbranch_execnz .LBB7_662
.LBB7_148:
	s_or_b64 exec, exec, s[2:3]
	s_and_saveexec_b64 s[2:3], s[0:1]
	s_cbranch_execz .LBB7_150
.LBB7_149:
	v_mov_b32_e32 v126, 7
	v_and_b32_sdwa v127, v86, v126 dst_sel:DWORD dst_unused:UNUSED_PAD src0_sel:WORD_1 src1_sel:DWORD
	v_ffbh_u32_e32 v129, v127
	v_mov_b32_e32 v128, 3
	v_min_u32_e32 v129, 32, v129
	v_lshrrev_b16_sdwa v128, v128, v86 dst_sel:DWORD dst_unused:UNUSED_PAD src0_sel:DWORD src1_sel:WORD_1
	v_subrev_u32_e32 v130, 28, v129
	v_and_b32_e32 v128, 15, v128
	v_lshlrev_b32_e32 v130, v130, v127
	v_sub_u32_e32 v129, 29, v129
	v_and_b32_e32 v130, 7, v130
	v_cmp_eq_u16_e32 vcc, 0, v128
	v_lshrrev_b16_sdwa v126, v126, v86 dst_sel:DWORD dst_unused:UNUSED_PAD src0_sel:DWORD src1_sel:WORD_1
	v_cndmask_b32_e32 v127, v127, v130, vcc
	v_cndmask_b32_e32 v128, v128, v129, vcc
	v_mov_b32_e32 v129, 0x3b800000
	v_lshlrev_b32_e32 v127, 20, v127
	v_lshlrev_b32_e32 v126, 31, v126
	v_lshl_add_u32 v128, v128, 23, v129
	v_or3_b32 v126, v126, v128, v127
.LBB7_150:
	s_or_b64 exec, exec, s[2:3]
	v_mov_b32_e32 v127, 8
	v_lshrrev_b16_sdwa v128, v127, v86 dst_sel:DWORD dst_unused:UNUSED_PAD src0_sel:DWORD src1_sel:WORD_1
	s_movk_i32 s0, 0x7f
	v_cmp_lt_i16_e32 vcc, s0, v128
	s_mov_b64 s[0:1], 0
                                        ; implicit-def: $sgpr7
	s_and_saveexec_b64 s[2:3], vcc
	s_xor_b64 s[2:3], exec, s[2:3]
	s_cbranch_execnz .LBB7_663
; %bb.151:
	s_or_saveexec_b64 s[2:3], s[2:3]
	v_mov_b32_e32 v127, s7
	s_xor_b64 exec, exec, s[2:3]
	s_cbranch_execnz .LBB7_666
.LBB7_152:
	s_or_b64 exec, exec, s[2:3]
	s_and_saveexec_b64 s[2:3], s[0:1]
	s_cbranch_execz .LBB7_154
.LBB7_153:
	v_mov_b32_e32 v127, 8
	v_lshrrev_b16_sdwa v127, v127, v86 dst_sel:DWORD dst_unused:UNUSED_PAD src0_sel:DWORD src1_sel:WORD_1
	v_and_b32_e32 v127, 7, v127
	v_mov_b32_e32 v128, 15
	v_mov_b32_e32 v129, 11
	v_lshrrev_b16_sdwa v128, v128, v86 dst_sel:DWORD dst_unused:UNUSED_PAD src0_sel:DWORD src1_sel:WORD_1
	v_lshrrev_b16_sdwa v86, v129, v86 dst_sel:DWORD dst_unused:UNUSED_PAD src0_sel:DWORD src1_sel:WORD_1
	v_ffbh_u32_e32 v129, v127
	v_min_u32_e32 v129, 32, v129
	v_subrev_u32_e32 v130, 28, v129
	v_and_b32_e32 v86, 15, v86
	v_lshlrev_b32_e32 v130, v130, v127
	v_sub_u32_e32 v129, 29, v129
	v_and_b32_e32 v130, 7, v130
	v_cmp_eq_u16_e32 vcc, 0, v86
	v_cndmask_b32_e32 v127, v127, v130, vcc
	v_cndmask_b32_e32 v86, v86, v129, vcc
	v_mov_b32_e32 v129, 0x3b800000
	v_lshlrev_b32_e32 v127, 20, v127
	v_lshlrev_b32_e32 v128, 31, v128
	v_lshl_add_u32 v86, v86, 23, v129
	v_or3_b32 v127, v128, v86, v127
.LBB7_154:
	s_or_b64 exec, exec, s[2:3]
	s_movk_i32 s0, 0x7f
	v_cmp_gt_i16_sdwa s[2:3], v87, s0 src0_sel:BYTE_0 src1_sel:DWORD
	s_mov_b64 s[0:1], 0
                                        ; implicit-def: $sgpr7
	s_and_saveexec_b64 s[4:5], s[2:3]
	s_xor_b64 s[2:3], exec, s[4:5]
	s_cbranch_execnz .LBB7_667
; %bb.155:
	s_or_saveexec_b64 s[2:3], s[2:3]
	v_mov_b32_e32 v86, s7
	s_xor_b64 exec, exec, s[2:3]
	s_cbranch_execnz .LBB7_670
.LBB7_156:
	s_or_b64 exec, exec, s[2:3]
	s_and_saveexec_b64 s[2:3], s[0:1]
	s_cbranch_execz .LBB7_158
.LBB7_157:
	v_and_b32_e32 v86, 7, v87
	v_ffbh_u32_e32 v130, v86
	v_min_u32_e32 v130, 32, v130
	v_lshrrev_b16_e32 v129, 3, v87
	v_subrev_u32_e32 v131, 28, v130
	v_and_b32_e32 v129, 15, v129
	v_lshlrev_b32_e32 v131, v131, v86
	v_sub_u32_e32 v130, 29, v130
	v_and_b32_e32 v131, 7, v131
	v_cmp_eq_u16_e32 vcc, 0, v129
	v_lshrrev_b16_e32 v128, 7, v87
	v_cndmask_b32_e32 v86, v86, v131, vcc
	v_cndmask_b32_e32 v129, v129, v130, vcc
	v_mov_b32_e32 v130, 0x3b800000
	v_lshlrev_b32_e32 v86, 20, v86
	v_lshlrev_b32_e32 v128, 31, v128
	v_lshl_add_u32 v129, v129, 23, v130
	v_or3_b32 v86, v128, v129, v86
.LBB7_158:
	s_or_b64 exec, exec, s[2:3]
	s_movk_i32 s0, 0x7f
	v_cmp_gt_i16_sdwa s[2:3], v87, s0 src0_sel:BYTE_1 src1_sel:DWORD
	s_mov_b64 s[0:1], 0
                                        ; implicit-def: $sgpr7
	s_and_saveexec_b64 s[4:5], s[2:3]
	s_xor_b64 s[2:3], exec, s[4:5]
	s_cbranch_execnz .LBB7_671
; %bb.159:
	s_or_saveexec_b64 s[2:3], s[2:3]
	v_mov_b32_e32 v128, s7
	s_xor_b64 exec, exec, s[2:3]
	s_cbranch_execnz .LBB7_674
.LBB7_160:
	s_or_b64 exec, exec, s[2:3]
	s_and_saveexec_b64 s[2:3], s[0:1]
	s_cbranch_execz .LBB7_162
.LBB7_161:
	v_mov_b32_e32 v128, 7
	v_and_b32_sdwa v128, v87, v128 dst_sel:DWORD dst_unused:UNUSED_PAD src0_sel:BYTE_1 src1_sel:DWORD
	v_ffbh_u32_e32 v131, v128
	v_min_u32_e32 v131, 32, v131
	v_lshrrev_b16_e32 v130, 11, v87
	v_subrev_u32_e32 v132, 28, v131
	v_and_b32_e32 v130, 15, v130
	v_lshlrev_b32_e32 v132, v132, v128
	v_sub_u32_e32 v131, 29, v131
	v_and_b32_e32 v132, 7, v132
	v_cmp_eq_u16_e32 vcc, 0, v130
	v_lshrrev_b16_e32 v129, 15, v87
	v_cndmask_b32_e32 v128, v128, v132, vcc
	v_cndmask_b32_e32 v130, v130, v131, vcc
	v_mov_b32_e32 v131, 0x3b800000
	v_lshlrev_b32_e32 v128, 20, v128
	v_lshlrev_b32_e32 v129, 31, v129
	v_lshl_add_u32 v130, v130, 23, v131
	v_or3_b32 v128, v129, v130, v128
.LBB7_162:
	s_or_b64 exec, exec, s[2:3]
	s_movk_i32 s0, 0xff
	v_and_b32_sdwa v130, v87, s0 dst_sel:DWORD dst_unused:UNUSED_PAD src0_sel:WORD_1 src1_sel:DWORD
	s_movk_i32 s0, 0x7f
	v_cmp_lt_i16_e32 vcc, s0, v130
	s_mov_b64 s[0:1], 0
                                        ; implicit-def: $sgpr7
	s_and_saveexec_b64 s[2:3], vcc
	s_xor_b64 s[2:3], exec, s[2:3]
	s_cbranch_execnz .LBB7_675
; %bb.163:
	s_or_saveexec_b64 s[2:3], s[2:3]
	v_mov_b32_e32 v129, s7
	s_xor_b64 exec, exec, s[2:3]
	s_cbranch_execnz .LBB7_678
.LBB7_164:
	s_or_b64 exec, exec, s[2:3]
	s_and_saveexec_b64 s[2:3], s[0:1]
	s_cbranch_execz .LBB7_166
.LBB7_165:
	v_mov_b32_e32 v129, 7
	v_and_b32_sdwa v130, v87, v129 dst_sel:DWORD dst_unused:UNUSED_PAD src0_sel:WORD_1 src1_sel:DWORD
	v_ffbh_u32_e32 v132, v130
	v_mov_b32_e32 v131, 3
	v_min_u32_e32 v132, 32, v132
	v_lshrrev_b16_sdwa v131, v131, v87 dst_sel:DWORD dst_unused:UNUSED_PAD src0_sel:DWORD src1_sel:WORD_1
	v_subrev_u32_e32 v133, 28, v132
	v_and_b32_e32 v131, 15, v131
	v_lshlrev_b32_e32 v133, v133, v130
	v_sub_u32_e32 v132, 29, v132
	v_and_b32_e32 v133, 7, v133
	v_cmp_eq_u16_e32 vcc, 0, v131
	v_lshrrev_b16_sdwa v129, v129, v87 dst_sel:DWORD dst_unused:UNUSED_PAD src0_sel:DWORD src1_sel:WORD_1
	v_cndmask_b32_e32 v130, v130, v133, vcc
	v_cndmask_b32_e32 v131, v131, v132, vcc
	v_mov_b32_e32 v132, 0x3b800000
	v_lshlrev_b32_e32 v130, 20, v130
	v_lshlrev_b32_e32 v129, 31, v129
	v_lshl_add_u32 v131, v131, 23, v132
	v_or3_b32 v129, v129, v131, v130
.LBB7_166:
	s_or_b64 exec, exec, s[2:3]
	v_mov_b32_e32 v130, 8
	v_lshrrev_b16_sdwa v131, v130, v87 dst_sel:DWORD dst_unused:UNUSED_PAD src0_sel:DWORD src1_sel:WORD_1
	s_movk_i32 s0, 0x7f
	v_cmp_lt_i16_e32 vcc, s0, v131
	s_mov_b64 s[0:1], 0
                                        ; implicit-def: $sgpr7
	s_and_saveexec_b64 s[2:3], vcc
	s_xor_b64 s[2:3], exec, s[2:3]
	s_cbranch_execnz .LBB7_679
; %bb.167:
	s_or_saveexec_b64 s[2:3], s[2:3]
	v_mov_b32_e32 v130, s7
	s_xor_b64 exec, exec, s[2:3]
	s_cbranch_execnz .LBB7_682
.LBB7_168:
	s_or_b64 exec, exec, s[2:3]
	s_and_saveexec_b64 s[2:3], s[0:1]
	s_cbranch_execz .LBB7_170
.LBB7_169:
	v_mov_b32_e32 v130, 8
	v_lshrrev_b16_sdwa v130, v130, v87 dst_sel:DWORD dst_unused:UNUSED_PAD src0_sel:DWORD src1_sel:WORD_1
	v_and_b32_e32 v130, 7, v130
	v_mov_b32_e32 v131, 15
	v_mov_b32_e32 v132, 11
	v_lshrrev_b16_sdwa v131, v131, v87 dst_sel:DWORD dst_unused:UNUSED_PAD src0_sel:DWORD src1_sel:WORD_1
	v_lshrrev_b16_sdwa v87, v132, v87 dst_sel:DWORD dst_unused:UNUSED_PAD src0_sel:DWORD src1_sel:WORD_1
	v_ffbh_u32_e32 v132, v130
	v_min_u32_e32 v132, 32, v132
	v_subrev_u32_e32 v133, 28, v132
	v_and_b32_e32 v87, 15, v87
	v_lshlrev_b32_e32 v133, v133, v130
	v_sub_u32_e32 v132, 29, v132
	v_and_b32_e32 v133, 7, v133
	v_cmp_eq_u16_e32 vcc, 0, v87
	v_cndmask_b32_e32 v130, v130, v133, vcc
	v_cndmask_b32_e32 v87, v87, v132, vcc
	v_mov_b32_e32 v132, 0x3b800000
	v_lshlrev_b32_e32 v130, 20, v130
	v_lshlrev_b32_e32 v131, 31, v131
	v_lshl_add_u32 v87, v87, 23, v132
	v_or3_b32 v130, v131, v87, v130
.LBB7_170:
	s_or_b64 exec, exec, s[2:3]
	s_movk_i32 s0, 0x7f
	v_cmp_gt_i16_sdwa s[2:3], v88, s0 src0_sel:BYTE_0 src1_sel:DWORD
	s_mov_b64 s[0:1], 0
                                        ; implicit-def: $sgpr7
	s_and_saveexec_b64 s[4:5], s[2:3]
	s_xor_b64 s[2:3], exec, s[4:5]
	s_cbranch_execnz .LBB7_683
; %bb.171:
	s_or_saveexec_b64 s[2:3], s[2:3]
	v_mov_b32_e32 v87, s7
	s_xor_b64 exec, exec, s[2:3]
	s_cbranch_execnz .LBB7_686
.LBB7_172:
	s_or_b64 exec, exec, s[2:3]
	s_and_saveexec_b64 s[2:3], s[0:1]
	s_cbranch_execz .LBB7_174
.LBB7_173:
	v_and_b32_e32 v87, 7, v88
	v_ffbh_u32_e32 v133, v87
	v_min_u32_e32 v133, 32, v133
	v_lshrrev_b16_e32 v132, 3, v88
	v_subrev_u32_e32 v134, 28, v133
	v_and_b32_e32 v132, 15, v132
	v_lshlrev_b32_e32 v134, v134, v87
	v_sub_u32_e32 v133, 29, v133
	v_and_b32_e32 v134, 7, v134
	v_cmp_eq_u16_e32 vcc, 0, v132
	v_lshrrev_b16_e32 v131, 7, v88
	v_cndmask_b32_e32 v87, v87, v134, vcc
	v_cndmask_b32_e32 v132, v132, v133, vcc
	v_mov_b32_e32 v133, 0x3b800000
	v_lshlrev_b32_e32 v87, 20, v87
	v_lshlrev_b32_e32 v131, 31, v131
	v_lshl_add_u32 v132, v132, 23, v133
	v_or3_b32 v87, v131, v132, v87
.LBB7_174:
	s_or_b64 exec, exec, s[2:3]
	s_movk_i32 s0, 0x7f
	v_cmp_gt_i16_sdwa s[2:3], v88, s0 src0_sel:BYTE_1 src1_sel:DWORD
	s_mov_b64 s[0:1], 0
                                        ; implicit-def: $sgpr7
	s_and_saveexec_b64 s[4:5], s[2:3]
	s_xor_b64 s[2:3], exec, s[4:5]
	s_cbranch_execnz .LBB7_687
; %bb.175:
	s_or_saveexec_b64 s[2:3], s[2:3]
	v_mov_b32_e32 v131, s7
	s_xor_b64 exec, exec, s[2:3]
	s_cbranch_execnz .LBB7_690
.LBB7_176:
	s_or_b64 exec, exec, s[2:3]
	s_and_saveexec_b64 s[2:3], s[0:1]
	s_cbranch_execz .LBB7_178
.LBB7_177:
	v_mov_b32_e32 v131, 7
	v_and_b32_sdwa v131, v88, v131 dst_sel:DWORD dst_unused:UNUSED_PAD src0_sel:BYTE_1 src1_sel:DWORD
	v_ffbh_u32_e32 v134, v131
	v_min_u32_e32 v134, 32, v134
	v_lshrrev_b16_e32 v133, 11, v88
	v_subrev_u32_e32 v135, 28, v134
	v_and_b32_e32 v133, 15, v133
	v_lshlrev_b32_e32 v135, v135, v131
	v_sub_u32_e32 v134, 29, v134
	v_and_b32_e32 v135, 7, v135
	v_cmp_eq_u16_e32 vcc, 0, v133
	v_lshrrev_b16_e32 v132, 15, v88
	v_cndmask_b32_e32 v131, v131, v135, vcc
	v_cndmask_b32_e32 v133, v133, v134, vcc
	v_mov_b32_e32 v134, 0x3b800000
	v_lshlrev_b32_e32 v131, 20, v131
	v_lshlrev_b32_e32 v132, 31, v132
	v_lshl_add_u32 v133, v133, 23, v134
	v_or3_b32 v131, v132, v133, v131
.LBB7_178:
	s_or_b64 exec, exec, s[2:3]
	s_movk_i32 s0, 0xff
	v_and_b32_sdwa v133, v88, s0 dst_sel:DWORD dst_unused:UNUSED_PAD src0_sel:WORD_1 src1_sel:DWORD
	s_movk_i32 s0, 0x7f
	v_cmp_lt_i16_e32 vcc, s0, v133
	s_mov_b64 s[0:1], 0
                                        ; implicit-def: $sgpr7
	s_and_saveexec_b64 s[2:3], vcc
	s_xor_b64 s[2:3], exec, s[2:3]
	s_cbranch_execnz .LBB7_691
; %bb.179:
	s_or_saveexec_b64 s[2:3], s[2:3]
	v_mov_b32_e32 v132, s7
	s_xor_b64 exec, exec, s[2:3]
	s_cbranch_execnz .LBB7_694
.LBB7_180:
	s_or_b64 exec, exec, s[2:3]
	s_and_saveexec_b64 s[2:3], s[0:1]
	s_cbranch_execz .LBB7_182
.LBB7_181:
	v_mov_b32_e32 v132, 7
	v_and_b32_sdwa v133, v88, v132 dst_sel:DWORD dst_unused:UNUSED_PAD src0_sel:WORD_1 src1_sel:DWORD
	v_ffbh_u32_e32 v135, v133
	v_mov_b32_e32 v134, 3
	v_min_u32_e32 v135, 32, v135
	v_lshrrev_b16_sdwa v134, v134, v88 dst_sel:DWORD dst_unused:UNUSED_PAD src0_sel:DWORD src1_sel:WORD_1
	v_subrev_u32_e32 v136, 28, v135
	v_and_b32_e32 v134, 15, v134
	v_lshlrev_b32_e32 v136, v136, v133
	v_sub_u32_e32 v135, 29, v135
	v_and_b32_e32 v136, 7, v136
	v_cmp_eq_u16_e32 vcc, 0, v134
	v_lshrrev_b16_sdwa v132, v132, v88 dst_sel:DWORD dst_unused:UNUSED_PAD src0_sel:DWORD src1_sel:WORD_1
	v_cndmask_b32_e32 v133, v133, v136, vcc
	v_cndmask_b32_e32 v134, v134, v135, vcc
	v_mov_b32_e32 v135, 0x3b800000
	v_lshlrev_b32_e32 v133, 20, v133
	v_lshlrev_b32_e32 v132, 31, v132
	v_lshl_add_u32 v134, v134, 23, v135
	v_or3_b32 v132, v132, v134, v133
.LBB7_182:
	s_or_b64 exec, exec, s[2:3]
	v_mov_b32_e32 v133, 8
	v_lshrrev_b16_sdwa v134, v133, v88 dst_sel:DWORD dst_unused:UNUSED_PAD src0_sel:DWORD src1_sel:WORD_1
	s_movk_i32 s0, 0x7f
	v_cmp_lt_i16_e32 vcc, s0, v134
	s_mov_b64 s[0:1], 0
                                        ; implicit-def: $sgpr7
	s_and_saveexec_b64 s[2:3], vcc
	s_xor_b64 s[2:3], exec, s[2:3]
	s_cbranch_execnz .LBB7_695
; %bb.183:
	s_or_saveexec_b64 s[2:3], s[2:3]
	v_mov_b32_e32 v133, s7
	s_xor_b64 exec, exec, s[2:3]
	s_cbranch_execnz .LBB7_698
.LBB7_184:
	s_or_b64 exec, exec, s[2:3]
	s_and_saveexec_b64 s[2:3], s[0:1]
	s_cbranch_execz .LBB7_186
.LBB7_185:
	v_mov_b32_e32 v133, 8
	v_lshrrev_b16_sdwa v133, v133, v88 dst_sel:DWORD dst_unused:UNUSED_PAD src0_sel:DWORD src1_sel:WORD_1
	v_and_b32_e32 v133, 7, v133
	v_mov_b32_e32 v134, 15
	v_mov_b32_e32 v135, 11
	v_lshrrev_b16_sdwa v134, v134, v88 dst_sel:DWORD dst_unused:UNUSED_PAD src0_sel:DWORD src1_sel:WORD_1
	v_lshrrev_b16_sdwa v88, v135, v88 dst_sel:DWORD dst_unused:UNUSED_PAD src0_sel:DWORD src1_sel:WORD_1
	v_ffbh_u32_e32 v135, v133
	v_min_u32_e32 v135, 32, v135
	v_subrev_u32_e32 v136, 28, v135
	v_and_b32_e32 v88, 15, v88
	v_lshlrev_b32_e32 v136, v136, v133
	v_sub_u32_e32 v135, 29, v135
	v_and_b32_e32 v136, 7, v136
	v_cmp_eq_u16_e32 vcc, 0, v88
	v_cndmask_b32_e32 v133, v133, v136, vcc
	v_cndmask_b32_e32 v88, v88, v135, vcc
	v_mov_b32_e32 v135, 0x3b800000
	v_lshlrev_b32_e32 v133, 20, v133
	v_lshlrev_b32_e32 v134, 31, v134
	v_lshl_add_u32 v88, v88, 23, v135
	v_or3_b32 v133, v134, v88, v133
.LBB7_186:
	s_or_b64 exec, exec, s[2:3]
	s_movk_i32 s0, 0x7f
	v_cmp_gt_i16_sdwa s[2:3], v89, s0 src0_sel:BYTE_0 src1_sel:DWORD
	s_mov_b64 s[0:1], 0
                                        ; implicit-def: $sgpr7
	s_and_saveexec_b64 s[4:5], s[2:3]
	s_xor_b64 s[2:3], exec, s[4:5]
	s_cbranch_execnz .LBB7_699
; %bb.187:
	s_or_saveexec_b64 s[2:3], s[2:3]
	v_mov_b32_e32 v88, s7
	s_xor_b64 exec, exec, s[2:3]
	s_cbranch_execnz .LBB7_702
.LBB7_188:
	s_or_b64 exec, exec, s[2:3]
	s_and_saveexec_b64 s[2:3], s[0:1]
	s_cbranch_execz .LBB7_190
.LBB7_189:
	v_and_b32_e32 v88, 7, v89
	v_ffbh_u32_e32 v136, v88
	v_min_u32_e32 v136, 32, v136
	v_lshrrev_b16_e32 v135, 3, v89
	v_subrev_u32_e32 v137, 28, v136
	v_and_b32_e32 v135, 15, v135
	v_lshlrev_b32_e32 v137, v137, v88
	v_sub_u32_e32 v136, 29, v136
	v_and_b32_e32 v137, 7, v137
	v_cmp_eq_u16_e32 vcc, 0, v135
	v_lshrrev_b16_e32 v134, 7, v89
	v_cndmask_b32_e32 v88, v88, v137, vcc
	v_cndmask_b32_e32 v135, v135, v136, vcc
	v_mov_b32_e32 v136, 0x3b800000
	v_lshlrev_b32_e32 v88, 20, v88
	v_lshlrev_b32_e32 v134, 31, v134
	v_lshl_add_u32 v135, v135, 23, v136
	v_or3_b32 v88, v134, v135, v88
.LBB7_190:
	s_or_b64 exec, exec, s[2:3]
	s_movk_i32 s0, 0x7f
	v_cmp_gt_i16_sdwa s[2:3], v89, s0 src0_sel:BYTE_1 src1_sel:DWORD
	s_mov_b64 s[0:1], 0
                                        ; implicit-def: $sgpr7
	s_and_saveexec_b64 s[4:5], s[2:3]
	s_xor_b64 s[2:3], exec, s[4:5]
	s_cbranch_execnz .LBB7_703
; %bb.191:
	s_or_saveexec_b64 s[2:3], s[2:3]
	v_mov_b32_e32 v134, s7
	s_xor_b64 exec, exec, s[2:3]
	s_cbranch_execnz .LBB7_706
.LBB7_192:
	s_or_b64 exec, exec, s[2:3]
	s_and_saveexec_b64 s[2:3], s[0:1]
	s_cbranch_execz .LBB7_194
.LBB7_193:
	v_mov_b32_e32 v134, 7
	v_and_b32_sdwa v134, v89, v134 dst_sel:DWORD dst_unused:UNUSED_PAD src0_sel:BYTE_1 src1_sel:DWORD
	v_ffbh_u32_e32 v137, v134
	v_min_u32_e32 v137, 32, v137
	v_lshrrev_b16_e32 v136, 11, v89
	v_subrev_u32_e32 v138, 28, v137
	v_and_b32_e32 v136, 15, v136
	v_lshlrev_b32_e32 v138, v138, v134
	v_sub_u32_e32 v137, 29, v137
	v_and_b32_e32 v138, 7, v138
	v_cmp_eq_u16_e32 vcc, 0, v136
	v_lshrrev_b16_e32 v135, 15, v89
	v_cndmask_b32_e32 v134, v134, v138, vcc
	v_cndmask_b32_e32 v136, v136, v137, vcc
	v_mov_b32_e32 v137, 0x3b800000
	v_lshlrev_b32_e32 v134, 20, v134
	v_lshlrev_b32_e32 v135, 31, v135
	v_lshl_add_u32 v136, v136, 23, v137
	v_or3_b32 v134, v135, v136, v134
.LBB7_194:
	s_or_b64 exec, exec, s[2:3]
	s_movk_i32 s0, 0xff
	v_and_b32_sdwa v136, v89, s0 dst_sel:DWORD dst_unused:UNUSED_PAD src0_sel:WORD_1 src1_sel:DWORD
	s_movk_i32 s0, 0x7f
	v_cmp_lt_i16_e32 vcc, s0, v136
	s_mov_b64 s[0:1], 0
                                        ; implicit-def: $sgpr7
	s_and_saveexec_b64 s[2:3], vcc
	s_xor_b64 s[2:3], exec, s[2:3]
	s_cbranch_execnz .LBB7_707
; %bb.195:
	s_or_saveexec_b64 s[2:3], s[2:3]
	v_mov_b32_e32 v135, s7
	s_xor_b64 exec, exec, s[2:3]
	s_cbranch_execnz .LBB7_710
.LBB7_196:
	s_or_b64 exec, exec, s[2:3]
	s_and_saveexec_b64 s[2:3], s[0:1]
	s_cbranch_execz .LBB7_198
.LBB7_197:
	v_mov_b32_e32 v135, 7
	v_and_b32_sdwa v136, v89, v135 dst_sel:DWORD dst_unused:UNUSED_PAD src0_sel:WORD_1 src1_sel:DWORD
	v_ffbh_u32_e32 v138, v136
	v_mov_b32_e32 v137, 3
	v_min_u32_e32 v138, 32, v138
	v_lshrrev_b16_sdwa v137, v137, v89 dst_sel:DWORD dst_unused:UNUSED_PAD src0_sel:DWORD src1_sel:WORD_1
	v_subrev_u32_e32 v139, 28, v138
	v_and_b32_e32 v137, 15, v137
	v_lshlrev_b32_e32 v139, v139, v136
	v_sub_u32_e32 v138, 29, v138
	v_and_b32_e32 v139, 7, v139
	v_cmp_eq_u16_e32 vcc, 0, v137
	v_lshrrev_b16_sdwa v135, v135, v89 dst_sel:DWORD dst_unused:UNUSED_PAD src0_sel:DWORD src1_sel:WORD_1
	v_cndmask_b32_e32 v136, v136, v139, vcc
	v_cndmask_b32_e32 v137, v137, v138, vcc
	v_mov_b32_e32 v138, 0x3b800000
	v_lshlrev_b32_e32 v136, 20, v136
	v_lshlrev_b32_e32 v135, 31, v135
	v_lshl_add_u32 v137, v137, 23, v138
	v_or3_b32 v135, v135, v137, v136
.LBB7_198:
	s_or_b64 exec, exec, s[2:3]
	v_mov_b32_e32 v136, 8
	v_lshrrev_b16_sdwa v137, v136, v89 dst_sel:DWORD dst_unused:UNUSED_PAD src0_sel:DWORD src1_sel:WORD_1
	s_movk_i32 s0, 0x7f
	v_cmp_lt_i16_e32 vcc, s0, v137
	s_mov_b64 s[0:1], 0
                                        ; implicit-def: $sgpr7
	s_and_saveexec_b64 s[2:3], vcc
	s_xor_b64 s[2:3], exec, s[2:3]
	s_cbranch_execnz .LBB7_711
; %bb.199:
	s_or_saveexec_b64 s[2:3], s[2:3]
	v_mov_b32_e32 v136, s7
	s_xor_b64 exec, exec, s[2:3]
	s_cbranch_execnz .LBB7_714
.LBB7_200:
	s_or_b64 exec, exec, s[2:3]
	s_and_saveexec_b64 s[2:3], s[0:1]
	s_cbranch_execz .LBB7_202
.LBB7_201:
	v_mov_b32_e32 v136, 8
	v_lshrrev_b16_sdwa v136, v136, v89 dst_sel:DWORD dst_unused:UNUSED_PAD src0_sel:DWORD src1_sel:WORD_1
	v_and_b32_e32 v136, 7, v136
	v_mov_b32_e32 v137, 15
	v_mov_b32_e32 v138, 11
	v_lshrrev_b16_sdwa v137, v137, v89 dst_sel:DWORD dst_unused:UNUSED_PAD src0_sel:DWORD src1_sel:WORD_1
	v_lshrrev_b16_sdwa v89, v138, v89 dst_sel:DWORD dst_unused:UNUSED_PAD src0_sel:DWORD src1_sel:WORD_1
	v_ffbh_u32_e32 v138, v136
	v_min_u32_e32 v138, 32, v138
	v_subrev_u32_e32 v139, 28, v138
	v_and_b32_e32 v89, 15, v89
	v_lshlrev_b32_e32 v139, v139, v136
	v_sub_u32_e32 v138, 29, v138
	v_and_b32_e32 v139, 7, v139
	v_cmp_eq_u16_e32 vcc, 0, v89
	v_cndmask_b32_e32 v136, v136, v139, vcc
	v_cndmask_b32_e32 v89, v89, v138, vcc
	v_mov_b32_e32 v138, 0x3b800000
	v_lshlrev_b32_e32 v136, 20, v136
	v_lshlrev_b32_e32 v137, 31, v137
	v_lshl_add_u32 v89, v89, 23, v138
	v_or3_b32 v136, v137, v89, v136
.LBB7_202:
	s_or_b64 exec, exec, s[2:3]
	s_movk_i32 s0, 0x7f
	s_waitcnt lgkmcnt(11)
	v_cmp_gt_i16_sdwa s[2:3], v82, s0 src0_sel:BYTE_0 src1_sel:DWORD
	s_mov_b64 s[0:1], 0
                                        ; implicit-def: $sgpr7
	s_and_saveexec_b64 s[4:5], s[2:3]
	s_xor_b64 s[2:3], exec, s[4:5]
	s_cbranch_execnz .LBB7_715
; %bb.203:
	s_or_saveexec_b64 s[2:3], s[2:3]
	v_mov_b32_e32 v89, s7
	s_xor_b64 exec, exec, s[2:3]
	s_cbranch_execnz .LBB7_718
.LBB7_204:
	s_or_b64 exec, exec, s[2:3]
	s_and_saveexec_b64 s[2:3], s[0:1]
	s_cbranch_execz .LBB7_206
.LBB7_205:
	v_and_b32_e32 v89, 7, v82
	v_ffbh_u32_e32 v139, v89
	v_min_u32_e32 v139, 32, v139
	v_lshrrev_b16_e32 v138, 3, v82
	v_subrev_u32_e32 v140, 28, v139
	v_and_b32_e32 v138, 15, v138
	v_lshlrev_b32_e32 v140, v140, v89
	v_sub_u32_e32 v139, 29, v139
	v_and_b32_e32 v140, 7, v140
	v_cmp_eq_u16_e32 vcc, 0, v138
	v_lshrrev_b16_e32 v137, 7, v82
	v_cndmask_b32_e32 v89, v89, v140, vcc
	v_cndmask_b32_e32 v138, v138, v139, vcc
	v_mov_b32_e32 v139, 0x3b800000
	v_lshlrev_b32_e32 v89, 20, v89
	v_lshlrev_b32_e32 v137, 31, v137
	v_lshl_add_u32 v138, v138, 23, v139
	v_or3_b32 v89, v137, v138, v89
.LBB7_206:
	s_or_b64 exec, exec, s[2:3]
	s_movk_i32 s0, 0x7f
	v_cmp_gt_i16_sdwa s[2:3], v82, s0 src0_sel:BYTE_1 src1_sel:DWORD
	s_mov_b64 s[0:1], 0
                                        ; implicit-def: $sgpr7
	s_and_saveexec_b64 s[4:5], s[2:3]
	s_xor_b64 s[2:3], exec, s[4:5]
	s_cbranch_execnz .LBB7_719
; %bb.207:
	s_or_saveexec_b64 s[2:3], s[2:3]
	v_mov_b32_e32 v137, s7
	s_xor_b64 exec, exec, s[2:3]
	s_cbranch_execnz .LBB7_722
.LBB7_208:
	s_or_b64 exec, exec, s[2:3]
	s_and_saveexec_b64 s[2:3], s[0:1]
	s_cbranch_execz .LBB7_210
.LBB7_209:
	v_mov_b32_e32 v137, 7
	v_and_b32_sdwa v137, v82, v137 dst_sel:DWORD dst_unused:UNUSED_PAD src0_sel:BYTE_1 src1_sel:DWORD
	v_ffbh_u32_e32 v140, v137
	v_min_u32_e32 v140, 32, v140
	v_lshrrev_b16_e32 v139, 11, v82
	v_subrev_u32_e32 v141, 28, v140
	v_and_b32_e32 v139, 15, v139
	v_lshlrev_b32_e32 v141, v141, v137
	v_sub_u32_e32 v140, 29, v140
	v_and_b32_e32 v141, 7, v141
	v_cmp_eq_u16_e32 vcc, 0, v139
	v_lshrrev_b16_e32 v138, 15, v82
	v_cndmask_b32_e32 v137, v137, v141, vcc
	v_cndmask_b32_e32 v139, v139, v140, vcc
	v_mov_b32_e32 v140, 0x3b800000
	v_lshlrev_b32_e32 v137, 20, v137
	v_lshlrev_b32_e32 v138, 31, v138
	v_lshl_add_u32 v139, v139, 23, v140
	v_or3_b32 v137, v138, v139, v137
.LBB7_210:
	s_or_b64 exec, exec, s[2:3]
	s_movk_i32 s0, 0xff
	v_and_b32_sdwa v139, v82, s0 dst_sel:DWORD dst_unused:UNUSED_PAD src0_sel:WORD_1 src1_sel:DWORD
	s_movk_i32 s0, 0x7f
	v_cmp_lt_i16_e32 vcc, s0, v139
	s_mov_b64 s[0:1], 0
                                        ; implicit-def: $sgpr7
	s_and_saveexec_b64 s[2:3], vcc
	s_xor_b64 s[2:3], exec, s[2:3]
	s_cbranch_execnz .LBB7_723
; %bb.211:
	s_or_saveexec_b64 s[2:3], s[2:3]
	v_mov_b32_e32 v138, s7
	s_xor_b64 exec, exec, s[2:3]
	s_cbranch_execnz .LBB7_726
.LBB7_212:
	s_or_b64 exec, exec, s[2:3]
	s_and_saveexec_b64 s[2:3], s[0:1]
	s_cbranch_execz .LBB7_214
.LBB7_213:
	v_mov_b32_e32 v138, 7
	v_and_b32_sdwa v139, v82, v138 dst_sel:DWORD dst_unused:UNUSED_PAD src0_sel:WORD_1 src1_sel:DWORD
	v_ffbh_u32_e32 v141, v139
	v_mov_b32_e32 v140, 3
	v_min_u32_e32 v141, 32, v141
	v_lshrrev_b16_sdwa v140, v140, v82 dst_sel:DWORD dst_unused:UNUSED_PAD src0_sel:DWORD src1_sel:WORD_1
	v_subrev_u32_e32 v142, 28, v141
	v_and_b32_e32 v140, 15, v140
	v_lshlrev_b32_e32 v142, v142, v139
	v_sub_u32_e32 v141, 29, v141
	v_and_b32_e32 v142, 7, v142
	v_cmp_eq_u16_e32 vcc, 0, v140
	v_lshrrev_b16_sdwa v138, v138, v82 dst_sel:DWORD dst_unused:UNUSED_PAD src0_sel:DWORD src1_sel:WORD_1
	v_cndmask_b32_e32 v139, v139, v142, vcc
	v_cndmask_b32_e32 v140, v140, v141, vcc
	v_mov_b32_e32 v141, 0x3b800000
	v_lshlrev_b32_e32 v139, 20, v139
	v_lshlrev_b32_e32 v138, 31, v138
	v_lshl_add_u32 v140, v140, 23, v141
	v_or3_b32 v138, v138, v140, v139
.LBB7_214:
	s_or_b64 exec, exec, s[2:3]
	v_mov_b32_e32 v139, 8
	v_lshrrev_b16_sdwa v140, v139, v82 dst_sel:DWORD dst_unused:UNUSED_PAD src0_sel:DWORD src1_sel:WORD_1
	s_movk_i32 s0, 0x7f
	v_cmp_lt_i16_e32 vcc, s0, v140
	s_mov_b64 s[0:1], 0
                                        ; implicit-def: $sgpr7
	s_and_saveexec_b64 s[2:3], vcc
	s_xor_b64 s[2:3], exec, s[2:3]
	s_cbranch_execnz .LBB7_727
; %bb.215:
	s_or_saveexec_b64 s[2:3], s[2:3]
	v_mov_b32_e32 v139, s7
	s_xor_b64 exec, exec, s[2:3]
	s_cbranch_execnz .LBB7_730
.LBB7_216:
	s_or_b64 exec, exec, s[2:3]
	s_and_saveexec_b64 s[2:3], s[0:1]
	s_cbranch_execz .LBB7_218
.LBB7_217:
	v_mov_b32_e32 v139, 8
	v_lshrrev_b16_sdwa v139, v139, v82 dst_sel:DWORD dst_unused:UNUSED_PAD src0_sel:DWORD src1_sel:WORD_1
	v_and_b32_e32 v139, 7, v139
	v_mov_b32_e32 v140, 15
	v_mov_b32_e32 v141, 11
	v_lshrrev_b16_sdwa v140, v140, v82 dst_sel:DWORD dst_unused:UNUSED_PAD src0_sel:DWORD src1_sel:WORD_1
	v_lshrrev_b16_sdwa v82, v141, v82 dst_sel:DWORD dst_unused:UNUSED_PAD src0_sel:DWORD src1_sel:WORD_1
	v_ffbh_u32_e32 v141, v139
	v_min_u32_e32 v141, 32, v141
	v_subrev_u32_e32 v142, 28, v141
	v_and_b32_e32 v82, 15, v82
	v_lshlrev_b32_e32 v142, v142, v139
	v_sub_u32_e32 v141, 29, v141
	v_and_b32_e32 v142, 7, v142
	v_cmp_eq_u16_e32 vcc, 0, v82
	v_cndmask_b32_e32 v139, v139, v142, vcc
	v_cndmask_b32_e32 v82, v82, v141, vcc
	v_mov_b32_e32 v141, 0x3b800000
	v_lshlrev_b32_e32 v139, 20, v139
	v_lshlrev_b32_e32 v140, 31, v140
	v_lshl_add_u32 v82, v82, 23, v141
	v_or3_b32 v139, v140, v82, v139
.LBB7_218:
	s_or_b64 exec, exec, s[2:3]
	s_movk_i32 s0, 0x7f
	v_cmp_gt_i16_sdwa s[2:3], v83, s0 src0_sel:BYTE_0 src1_sel:DWORD
	s_mov_b64 s[0:1], 0
                                        ; implicit-def: $sgpr7
	s_and_saveexec_b64 s[4:5], s[2:3]
	s_xor_b64 s[2:3], exec, s[4:5]
	s_cbranch_execnz .LBB7_731
; %bb.219:
	s_or_saveexec_b64 s[2:3], s[2:3]
	v_mov_b32_e32 v140, s7
	s_xor_b64 exec, exec, s[2:3]
	s_cbranch_execnz .LBB7_734
.LBB7_220:
	s_or_b64 exec, exec, s[2:3]
	s_and_saveexec_b64 s[2:3], s[0:1]
	s_cbranch_execz .LBB7_222
.LBB7_221:
	v_and_b32_e32 v82, 7, v83
	v_ffbh_u32_e32 v142, v82
	v_min_u32_e32 v142, 32, v142
	v_lshrrev_b16_e32 v141, 3, v83
	v_subrev_u32_e32 v143, 28, v142
	v_and_b32_e32 v141, 15, v141
	v_lshlrev_b32_e32 v143, v143, v82
	v_sub_u32_e32 v142, 29, v142
	v_and_b32_e32 v143, 7, v143
	v_cmp_eq_u16_e32 vcc, 0, v141
	v_lshrrev_b16_e32 v140, 7, v83
	v_cndmask_b32_e32 v82, v82, v143, vcc
	v_cndmask_b32_e32 v141, v141, v142, vcc
	v_mov_b32_e32 v142, 0x3b800000
	v_lshlrev_b32_e32 v82, 20, v82
	v_lshlrev_b32_e32 v140, 31, v140
	v_lshl_add_u32 v141, v141, 23, v142
	v_or3_b32 v140, v140, v141, v82
.LBB7_222:
	s_or_b64 exec, exec, s[2:3]
	s_movk_i32 s0, 0x7f
	v_cmp_gt_i16_sdwa s[2:3], v83, s0 src0_sel:BYTE_1 src1_sel:DWORD
	s_mov_b64 s[0:1], 0
                                        ; implicit-def: $sgpr7
	s_and_saveexec_b64 s[4:5], s[2:3]
	s_xor_b64 s[2:3], exec, s[4:5]
	s_cbranch_execnz .LBB7_735
; %bb.223:
	s_or_saveexec_b64 s[2:3], s[2:3]
	v_mov_b32_e32 v141, s7
	s_xor_b64 exec, exec, s[2:3]
	s_cbranch_execnz .LBB7_738
.LBB7_224:
	s_or_b64 exec, exec, s[2:3]
	s_and_saveexec_b64 s[2:3], s[0:1]
	s_cbranch_execz .LBB7_226
.LBB7_225:
	v_mov_b32_e32 v82, 7
	v_and_b32_sdwa v82, v83, v82 dst_sel:DWORD dst_unused:UNUSED_PAD src0_sel:BYTE_1 src1_sel:DWORD
	v_ffbh_u32_e32 v143, v82
	v_min_u32_e32 v143, 32, v143
	v_lshrrev_b16_e32 v142, 11, v83
	v_subrev_u32_e32 v144, 28, v143
	v_and_b32_e32 v142, 15, v142
	v_lshlrev_b32_e32 v144, v144, v82
	v_sub_u32_e32 v143, 29, v143
	v_and_b32_e32 v144, 7, v144
	v_cmp_eq_u16_e32 vcc, 0, v142
	v_lshrrev_b16_e32 v141, 15, v83
	v_cndmask_b32_e32 v82, v82, v144, vcc
	v_cndmask_b32_e32 v142, v142, v143, vcc
	v_mov_b32_e32 v143, 0x3b800000
	v_lshlrev_b32_e32 v82, 20, v82
	v_lshlrev_b32_e32 v141, 31, v141
	v_lshl_add_u32 v142, v142, 23, v143
	v_or3_b32 v141, v141, v142, v82
.LBB7_226:
	s_or_b64 exec, exec, s[2:3]
	s_movk_i32 s0, 0xff
	v_and_b32_sdwa v82, v83, s0 dst_sel:DWORD dst_unused:UNUSED_PAD src0_sel:WORD_1 src1_sel:DWORD
	s_movk_i32 s0, 0x7f
	v_cmp_lt_i16_e32 vcc, s0, v82
	s_mov_b64 s[0:1], 0
                                        ; implicit-def: $sgpr7
	s_and_saveexec_b64 s[2:3], vcc
	s_xor_b64 s[2:3], exec, s[2:3]
	s_cbranch_execnz .LBB7_739
; %bb.227:
	s_or_saveexec_b64 s[2:3], s[2:3]
	v_mov_b32_e32 v142, s7
	s_xor_b64 exec, exec, s[2:3]
	s_cbranch_execnz .LBB7_742
.LBB7_228:
	s_or_b64 exec, exec, s[2:3]
	s_and_saveexec_b64 s[2:3], s[0:1]
	s_cbranch_execz .LBB7_230
.LBB7_229:
	v_mov_b32_e32 v82, 7
	v_and_b32_sdwa v142, v83, v82 dst_sel:DWORD dst_unused:UNUSED_PAD src0_sel:WORD_1 src1_sel:DWORD
	v_ffbh_u32_e32 v144, v142
	v_mov_b32_e32 v143, 3
	v_min_u32_e32 v144, 32, v144
	v_lshrrev_b16_sdwa v143, v143, v83 dst_sel:DWORD dst_unused:UNUSED_PAD src0_sel:DWORD src1_sel:WORD_1
	v_subrev_u32_e32 v145, 28, v144
	v_and_b32_e32 v143, 15, v143
	v_lshlrev_b32_e32 v145, v145, v142
	v_sub_u32_e32 v144, 29, v144
	v_and_b32_e32 v145, 7, v145
	v_cmp_eq_u16_e32 vcc, 0, v143
	v_lshrrev_b16_sdwa v82, v82, v83 dst_sel:DWORD dst_unused:UNUSED_PAD src0_sel:DWORD src1_sel:WORD_1
	v_cndmask_b32_e32 v142, v142, v145, vcc
	v_cndmask_b32_e32 v143, v143, v144, vcc
	v_mov_b32_e32 v144, 0x3b800000
	v_lshlrev_b32_e32 v142, 20, v142
	v_lshlrev_b32_e32 v82, 31, v82
	v_lshl_add_u32 v143, v143, 23, v144
	v_or3_b32 v142, v82, v143, v142
.LBB7_230:
	s_or_b64 exec, exec, s[2:3]
	v_mov_b32_e32 v82, 8
	v_lshrrev_b16_sdwa v82, v82, v83 dst_sel:DWORD dst_unused:UNUSED_PAD src0_sel:DWORD src1_sel:WORD_1
	s_movk_i32 s0, 0x7f
	v_cmp_lt_i16_e32 vcc, s0, v82
	s_mov_b64 s[0:1], 0
                                        ; implicit-def: $sgpr7
	s_and_saveexec_b64 s[2:3], vcc
	s_xor_b64 s[2:3], exec, s[2:3]
	s_cbranch_execnz .LBB7_743
; %bb.231:
	s_or_saveexec_b64 s[2:3], s[2:3]
	v_mov_b32_e32 v143, s7
	s_xor_b64 exec, exec, s[2:3]
	s_cbranch_execnz .LBB7_746
.LBB7_232:
	s_or_b64 exec, exec, s[2:3]
	s_and_saveexec_b64 s[2:3], s[0:1]
	s_cbranch_execz .LBB7_234
.LBB7_233:
	v_mov_b32_e32 v82, 8
	v_lshrrev_b16_sdwa v82, v82, v83 dst_sel:DWORD dst_unused:UNUSED_PAD src0_sel:DWORD src1_sel:WORD_1
	v_and_b32_e32 v82, 7, v82
	v_mov_b32_e32 v143, 15
	v_mov_b32_e32 v144, 11
	v_lshrrev_b16_sdwa v143, v143, v83 dst_sel:DWORD dst_unused:UNUSED_PAD src0_sel:DWORD src1_sel:WORD_1
	v_lshrrev_b16_sdwa v83, v144, v83 dst_sel:DWORD dst_unused:UNUSED_PAD src0_sel:DWORD src1_sel:WORD_1
	v_ffbh_u32_e32 v144, v82
	v_min_u32_e32 v144, 32, v144
	v_subrev_u32_e32 v145, 28, v144
	v_and_b32_e32 v83, 15, v83
	v_lshlrev_b32_e32 v145, v145, v82
	v_sub_u32_e32 v144, 29, v144
	v_and_b32_e32 v145, 7, v145
	v_cmp_eq_u16_e32 vcc, 0, v83
	v_cndmask_b32_e32 v82, v82, v145, vcc
	v_cndmask_b32_e32 v83, v83, v144, vcc
	v_mov_b32_e32 v144, 0x3b800000
	v_lshlrev_b32_e32 v82, 20, v82
	v_lshlrev_b32_e32 v143, 31, v143
	v_lshl_add_u32 v83, v83, 23, v144
	v_or3_b32 v143, v143, v83, v82
.LBB7_234:
	s_or_b64 exec, exec, s[2:3]
	s_movk_i32 s0, 0x7f
	v_cmp_gt_i16_sdwa s[2:3], v84, s0 src0_sel:BYTE_0 src1_sel:DWORD
	s_mov_b64 s[0:1], 0
                                        ; implicit-def: $sgpr7
	s_and_saveexec_b64 s[4:5], s[2:3]
	s_xor_b64 s[2:3], exec, s[4:5]
	s_cbranch_execnz .LBB7_747
; %bb.235:
	s_or_saveexec_b64 s[2:3], s[2:3]
	v_mov_b32_e32 v144, s7
	s_xor_b64 exec, exec, s[2:3]
	s_cbranch_execnz .LBB7_750
.LBB7_236:
	s_or_b64 exec, exec, s[2:3]
	s_and_saveexec_b64 s[2:3], s[0:1]
	s_cbranch_execz .LBB7_238
.LBB7_237:
	v_and_b32_e32 v82, 7, v84
	v_ffbh_u32_e32 v145, v82
	v_min_u32_e32 v145, 32, v145
	v_lshrrev_b16_e32 v144, 3, v84
	v_subrev_u32_e32 v146, 28, v145
	v_and_b32_e32 v144, 15, v144
	v_lshlrev_b32_e32 v146, v146, v82
	v_sub_u32_e32 v145, 29, v145
	v_and_b32_e32 v146, 7, v146
	v_cmp_eq_u16_e32 vcc, 0, v144
	v_lshrrev_b16_e32 v83, 7, v84
	v_cndmask_b32_e32 v82, v82, v146, vcc
	v_cndmask_b32_e32 v144, v144, v145, vcc
	v_mov_b32_e32 v145, 0x3b800000
	v_lshlrev_b32_e32 v82, 20, v82
	v_lshlrev_b32_e32 v83, 31, v83
	v_lshl_add_u32 v144, v144, 23, v145
	v_or3_b32 v144, v83, v144, v82
.LBB7_238:
	s_or_b64 exec, exec, s[2:3]
	s_movk_i32 s0, 0x7f
	v_cmp_gt_i16_sdwa s[2:3], v84, s0 src0_sel:BYTE_1 src1_sel:DWORD
	s_mov_b64 s[0:1], 0
                                        ; implicit-def: $sgpr7
	s_and_saveexec_b64 s[4:5], s[2:3]
	s_xor_b64 s[2:3], exec, s[4:5]
	s_cbranch_execnz .LBB7_751
; %bb.239:
	s_or_saveexec_b64 s[2:3], s[2:3]
	v_mov_b32_e32 v145, s7
	s_xor_b64 exec, exec, s[2:3]
	s_cbranch_execnz .LBB7_754
.LBB7_240:
	s_or_b64 exec, exec, s[2:3]
	s_and_saveexec_b64 s[2:3], s[0:1]
	s_cbranch_execz .LBB7_242
.LBB7_241:
	v_mov_b32_e32 v82, 7
	v_and_b32_sdwa v82, v84, v82 dst_sel:DWORD dst_unused:UNUSED_PAD src0_sel:BYTE_1 src1_sel:DWORD
	v_ffbh_u32_e32 v146, v82
	v_min_u32_e32 v146, 32, v146
	v_lshrrev_b16_e32 v145, 11, v84
	v_subrev_u32_e32 v147, 28, v146
	v_and_b32_e32 v145, 15, v145
	v_lshlrev_b32_e32 v147, v147, v82
	v_sub_u32_e32 v146, 29, v146
	v_and_b32_e32 v147, 7, v147
	v_cmp_eq_u16_e32 vcc, 0, v145
	v_lshrrev_b16_e32 v83, 15, v84
	v_cndmask_b32_e32 v82, v82, v147, vcc
	v_cndmask_b32_e32 v145, v145, v146, vcc
	v_mov_b32_e32 v146, 0x3b800000
	v_lshlrev_b32_e32 v82, 20, v82
	v_lshlrev_b32_e32 v83, 31, v83
	v_lshl_add_u32 v145, v145, 23, v146
	v_or3_b32 v145, v83, v145, v82
.LBB7_242:
	s_or_b64 exec, exec, s[2:3]
	s_movk_i32 s0, 0xff
	v_and_b32_sdwa v82, v84, s0 dst_sel:DWORD dst_unused:UNUSED_PAD src0_sel:WORD_1 src1_sel:DWORD
	s_movk_i32 s0, 0x7f
	v_cmp_lt_i16_e32 vcc, s0, v82
	s_mov_b64 s[0:1], 0
                                        ; implicit-def: $sgpr7
	s_and_saveexec_b64 s[2:3], vcc
	s_xor_b64 s[2:3], exec, s[2:3]
	s_cbranch_execnz .LBB7_755
; %bb.243:
	s_or_saveexec_b64 s[2:3], s[2:3]
	v_mov_b32_e32 v146, s7
	s_xor_b64 exec, exec, s[2:3]
	s_cbranch_execnz .LBB7_758
.LBB7_244:
	s_or_b64 exec, exec, s[2:3]
	s_and_saveexec_b64 s[2:3], s[0:1]
	s_cbranch_execz .LBB7_246
.LBB7_245:
	v_mov_b32_e32 v82, 7
	v_and_b32_sdwa v83, v84, v82 dst_sel:DWORD dst_unused:UNUSED_PAD src0_sel:WORD_1 src1_sel:DWORD
	v_ffbh_u32_e32 v147, v83
	v_mov_b32_e32 v146, 3
	v_min_u32_e32 v147, 32, v147
	v_lshrrev_b16_sdwa v146, v146, v84 dst_sel:DWORD dst_unused:UNUSED_PAD src0_sel:DWORD src1_sel:WORD_1
	v_subrev_u32_e32 v148, 28, v147
	v_and_b32_e32 v146, 15, v146
	v_lshlrev_b32_e32 v148, v148, v83
	v_sub_u32_e32 v147, 29, v147
	v_and_b32_e32 v148, 7, v148
	v_cmp_eq_u16_e32 vcc, 0, v146
	v_lshrrev_b16_sdwa v82, v82, v84 dst_sel:DWORD dst_unused:UNUSED_PAD src0_sel:DWORD src1_sel:WORD_1
	v_cndmask_b32_e32 v83, v83, v148, vcc
	v_cndmask_b32_e32 v146, v146, v147, vcc
	v_mov_b32_e32 v147, 0x3b800000
	v_lshlrev_b32_e32 v83, 20, v83
	v_lshlrev_b32_e32 v82, 31, v82
	v_lshl_add_u32 v146, v146, 23, v147
	v_or3_b32 v146, v82, v146, v83
.LBB7_246:
	s_or_b64 exec, exec, s[2:3]
	v_mov_b32_e32 v82, 8
	v_lshrrev_b16_sdwa v82, v82, v84 dst_sel:DWORD dst_unused:UNUSED_PAD src0_sel:DWORD src1_sel:WORD_1
	s_movk_i32 s0, 0x7f
	v_cmp_lt_i16_e32 vcc, s0, v82
	s_mov_b64 s[0:1], 0
                                        ; implicit-def: $sgpr7
	s_and_saveexec_b64 s[2:3], vcc
	s_xor_b64 s[2:3], exec, s[2:3]
	s_cbranch_execnz .LBB7_759
; %bb.247:
	s_or_saveexec_b64 s[2:3], s[2:3]
	v_mov_b32_e32 v147, s7
	s_xor_b64 exec, exec, s[2:3]
	s_cbranch_execnz .LBB7_762
.LBB7_248:
	s_or_b64 exec, exec, s[2:3]
	s_and_saveexec_b64 s[2:3], s[0:1]
	s_cbranch_execz .LBB7_250
.LBB7_249:
	v_mov_b32_e32 v82, 8
	v_lshrrev_b16_sdwa v82, v82, v84 dst_sel:DWORD dst_unused:UNUSED_PAD src0_sel:DWORD src1_sel:WORD_1
	v_and_b32_e32 v82, 7, v82
	v_mov_b32_e32 v83, 15
	v_mov_b32_e32 v147, 11
	v_lshrrev_b16_sdwa v83, v83, v84 dst_sel:DWORD dst_unused:UNUSED_PAD src0_sel:DWORD src1_sel:WORD_1
	v_lshrrev_b16_sdwa v84, v147, v84 dst_sel:DWORD dst_unused:UNUSED_PAD src0_sel:DWORD src1_sel:WORD_1
	v_ffbh_u32_e32 v147, v82
	v_min_u32_e32 v147, 32, v147
	v_subrev_u32_e32 v148, 28, v147
	v_and_b32_e32 v84, 15, v84
	v_lshlrev_b32_e32 v148, v148, v82
	v_sub_u32_e32 v147, 29, v147
	v_and_b32_e32 v148, 7, v148
	v_cmp_eq_u16_e32 vcc, 0, v84
	v_cndmask_b32_e32 v82, v82, v148, vcc
	v_cndmask_b32_e32 v84, v84, v147, vcc
	v_mov_b32_e32 v147, 0x3b800000
	v_lshlrev_b32_e32 v82, 20, v82
	v_lshlrev_b32_e32 v83, 31, v83
	v_lshl_add_u32 v84, v84, 23, v147
	v_or3_b32 v147, v83, v84, v82
.LBB7_250:
	s_or_b64 exec, exec, s[2:3]
	s_movk_i32 s0, 0x7f
	v_cmp_gt_i16_sdwa s[2:3], v85, s0 src0_sel:BYTE_0 src1_sel:DWORD
	s_mov_b64 s[0:1], 0
                                        ; implicit-def: $sgpr7
	s_and_saveexec_b64 s[4:5], s[2:3]
	s_xor_b64 s[2:3], exec, s[4:5]
	s_cbranch_execnz .LBB7_763
; %bb.251:
	s_or_saveexec_b64 s[2:3], s[2:3]
	v_mov_b32_e32 v148, s7
	s_xor_b64 exec, exec, s[2:3]
	s_cbranch_execnz .LBB7_766
.LBB7_252:
	s_or_b64 exec, exec, s[2:3]
	s_and_saveexec_b64 s[2:3], s[0:1]
	s_cbranch_execz .LBB7_254
.LBB7_253:
	v_and_b32_e32 v82, 7, v85
	v_ffbh_u32_e32 v148, v82
	v_min_u32_e32 v148, 32, v148
	v_lshrrev_b16_e32 v84, 3, v85
	v_subrev_u32_e32 v149, 28, v148
	v_and_b32_e32 v84, 15, v84
	v_lshlrev_b32_e32 v149, v149, v82
	v_sub_u32_e32 v148, 29, v148
	v_and_b32_e32 v149, 7, v149
	v_cmp_eq_u16_e32 vcc, 0, v84
	v_lshrrev_b16_e32 v83, 7, v85
	v_cndmask_b32_e32 v82, v82, v149, vcc
	v_cndmask_b32_e32 v84, v84, v148, vcc
	v_mov_b32_e32 v148, 0x3b800000
	v_lshlrev_b32_e32 v82, 20, v82
	v_lshlrev_b32_e32 v83, 31, v83
	v_lshl_add_u32 v84, v84, 23, v148
	v_or3_b32 v148, v83, v84, v82
.LBB7_254:
	s_or_b64 exec, exec, s[2:3]
	s_movk_i32 s0, 0x7f
	v_cmp_gt_i16_sdwa s[2:3], v85, s0 src0_sel:BYTE_1 src1_sel:DWORD
	s_mov_b64 s[0:1], 0
                                        ; implicit-def: $sgpr7
	s_and_saveexec_b64 s[4:5], s[2:3]
	s_xor_b64 s[2:3], exec, s[4:5]
	s_cbranch_execnz .LBB7_767
; %bb.255:
	s_or_saveexec_b64 s[2:3], s[2:3]
	v_mov_b32_e32 v149, s7
	s_xor_b64 exec, exec, s[2:3]
	s_cbranch_execnz .LBB7_770
.LBB7_256:
	s_or_b64 exec, exec, s[2:3]
	s_and_saveexec_b64 s[2:3], s[0:1]
	s_cbranch_execz .LBB7_258
.LBB7_257:
	v_mov_b32_e32 v82, 7
	v_and_b32_sdwa v82, v85, v82 dst_sel:DWORD dst_unused:UNUSED_PAD src0_sel:BYTE_1 src1_sel:DWORD
	v_ffbh_u32_e32 v149, v82
	v_min_u32_e32 v149, 32, v149
	v_lshrrev_b16_e32 v84, 11, v85
	v_subrev_u32_e32 v150, 28, v149
	v_and_b32_e32 v84, 15, v84
	v_lshlrev_b32_e32 v150, v150, v82
	v_sub_u32_e32 v149, 29, v149
	v_and_b32_e32 v150, 7, v150
	v_cmp_eq_u16_e32 vcc, 0, v84
	v_lshrrev_b16_e32 v83, 15, v85
	v_cndmask_b32_e32 v82, v82, v150, vcc
	v_cndmask_b32_e32 v84, v84, v149, vcc
	v_mov_b32_e32 v149, 0x3b800000
	v_lshlrev_b32_e32 v82, 20, v82
	v_lshlrev_b32_e32 v83, 31, v83
	v_lshl_add_u32 v84, v84, 23, v149
	v_or3_b32 v149, v83, v84, v82
.LBB7_258:
	s_or_b64 exec, exec, s[2:3]
	s_movk_i32 s0, 0xff
	v_and_b32_sdwa v82, v85, s0 dst_sel:DWORD dst_unused:UNUSED_PAD src0_sel:WORD_1 src1_sel:DWORD
	s_movk_i32 s0, 0x7f
	v_cmp_lt_i16_e32 vcc, s0, v82
	s_mov_b64 s[0:1], 0
                                        ; implicit-def: $sgpr7
	s_and_saveexec_b64 s[2:3], vcc
	s_xor_b64 s[2:3], exec, s[2:3]
	s_cbranch_execnz .LBB7_771
; %bb.259:
	s_or_saveexec_b64 s[2:3], s[2:3]
	v_mov_b32_e32 v150, s7
	s_xor_b64 exec, exec, s[2:3]
	s_cbranch_execnz .LBB7_774
.LBB7_260:
	s_or_b64 exec, exec, s[2:3]
	s_and_saveexec_b64 s[2:3], s[0:1]
	s_cbranch_execz .LBB7_262
.LBB7_261:
	v_mov_b32_e32 v82, 7
	v_and_b32_sdwa v83, v85, v82 dst_sel:DWORD dst_unused:UNUSED_PAD src0_sel:WORD_1 src1_sel:DWORD
	v_ffbh_u32_e32 v150, v83
	v_mov_b32_e32 v84, 3
	v_min_u32_e32 v150, 32, v150
	v_lshrrev_b16_sdwa v84, v84, v85 dst_sel:DWORD dst_unused:UNUSED_PAD src0_sel:DWORD src1_sel:WORD_1
	v_subrev_u32_e32 v151, 28, v150
	v_and_b32_e32 v84, 15, v84
	v_lshlrev_b32_e32 v151, v151, v83
	v_sub_u32_e32 v150, 29, v150
	v_and_b32_e32 v151, 7, v151
	v_cmp_eq_u16_e32 vcc, 0, v84
	v_lshrrev_b16_sdwa v82, v82, v85 dst_sel:DWORD dst_unused:UNUSED_PAD src0_sel:DWORD src1_sel:WORD_1
	v_cndmask_b32_e32 v83, v83, v151, vcc
	v_cndmask_b32_e32 v84, v84, v150, vcc
	v_mov_b32_e32 v150, 0x3b800000
	v_lshlrev_b32_e32 v83, 20, v83
	v_lshlrev_b32_e32 v82, 31, v82
	v_lshl_add_u32 v84, v84, 23, v150
	v_or3_b32 v150, v82, v84, v83
.LBB7_262:
	s_or_b64 exec, exec, s[2:3]
	v_mov_b32_e32 v82, 8
	v_lshrrev_b16_sdwa v82, v82, v85 dst_sel:DWORD dst_unused:UNUSED_PAD src0_sel:DWORD src1_sel:WORD_1
	s_movk_i32 s0, 0x7f
	v_cmp_lt_i16_e32 vcc, s0, v82
	s_mov_b64 s[0:1], 0
                                        ; implicit-def: $sgpr7
	s_and_saveexec_b64 s[2:3], vcc
	s_xor_b64 s[2:3], exec, s[2:3]
	s_cbranch_execnz .LBB7_775
; %bb.263:
	s_or_saveexec_b64 s[2:3], s[2:3]
	v_mov_b32_e32 v151, s7
	s_xor_b64 exec, exec, s[2:3]
	s_cbranch_execnz .LBB7_778
.LBB7_264:
	s_or_b64 exec, exec, s[2:3]
	s_and_saveexec_b64 s[2:3], s[0:1]
	s_cbranch_execz .LBB7_266
.LBB7_265:
	v_mov_b32_e32 v82, 8
	v_lshrrev_b16_sdwa v82, v82, v85 dst_sel:DWORD dst_unused:UNUSED_PAD src0_sel:DWORD src1_sel:WORD_1
	v_and_b32_e32 v82, 7, v82
	v_mov_b32_e32 v83, 15
	v_mov_b32_e32 v84, 11
	v_lshrrev_b16_sdwa v83, v83, v85 dst_sel:DWORD dst_unused:UNUSED_PAD src0_sel:DWORD src1_sel:WORD_1
	v_lshrrev_b16_sdwa v84, v84, v85 dst_sel:DWORD dst_unused:UNUSED_PAD src0_sel:DWORD src1_sel:WORD_1
	v_ffbh_u32_e32 v85, v82
	v_min_u32_e32 v85, 32, v85
	v_subrev_u32_e32 v151, 28, v85
	v_and_b32_e32 v84, 15, v84
	v_lshlrev_b32_e32 v151, v151, v82
	v_sub_u32_e32 v85, 29, v85
	v_and_b32_e32 v151, 7, v151
	v_cmp_eq_u16_e32 vcc, 0, v84
	v_cndmask_b32_e32 v82, v82, v151, vcc
	v_cndmask_b32_e32 v84, v84, v85, vcc
	v_mov_b32_e32 v85, 0x3b800000
	v_lshlrev_b32_e32 v82, 20, v82
	v_lshlrev_b32_e32 v83, 31, v83
	v_lshl_add_u32 v84, v84, 23, v85
	v_or3_b32 v151, v83, v84, v82
.LBB7_266:
	s_or_b64 exec, exec, s[2:3]
	s_movk_i32 s0, 0x7f
	v_cmp_gt_i16_sdwa s[2:3], v78, s0 src0_sel:BYTE_0 src1_sel:DWORD
	s_mov_b64 s[0:1], 0
                                        ; implicit-def: $sgpr7
	s_and_saveexec_b64 s[4:5], s[2:3]
	s_xor_b64 s[2:3], exec, s[4:5]
	s_cbranch_execnz .LBB7_779
; %bb.267:
	s_or_saveexec_b64 s[2:3], s[2:3]
	v_mov_b32_e32 v152, s7
	s_xor_b64 exec, exec, s[2:3]
	s_cbranch_execnz .LBB7_782
.LBB7_268:
	s_or_b64 exec, exec, s[2:3]
	s_and_saveexec_b64 s[2:3], s[0:1]
	s_cbranch_execz .LBB7_270
.LBB7_269:
	v_and_b32_e32 v82, 7, v78
	v_ffbh_u32_e32 v85, v82
	v_min_u32_e32 v85, 32, v85
	v_lshrrev_b16_e32 v84, 3, v78
	v_subrev_u32_e32 v152, 28, v85
	v_and_b32_e32 v84, 15, v84
	v_lshlrev_b32_e32 v152, v152, v82
	v_sub_u32_e32 v85, 29, v85
	v_and_b32_e32 v152, 7, v152
	v_cmp_eq_u16_e32 vcc, 0, v84
	v_lshrrev_b16_e32 v83, 7, v78
	v_cndmask_b32_e32 v82, v82, v152, vcc
	v_cndmask_b32_e32 v84, v84, v85, vcc
	v_mov_b32_e32 v85, 0x3b800000
	v_lshlrev_b32_e32 v82, 20, v82
	v_lshlrev_b32_e32 v83, 31, v83
	v_lshl_add_u32 v84, v84, 23, v85
	v_or3_b32 v152, v83, v84, v82
.LBB7_270:
	s_or_b64 exec, exec, s[2:3]
	s_movk_i32 s0, 0x7f
	v_cmp_gt_i16_sdwa s[2:3], v78, s0 src0_sel:BYTE_1 src1_sel:DWORD
	s_mov_b64 s[0:1], 0
                                        ; implicit-def: $sgpr7
	s_and_saveexec_b64 s[4:5], s[2:3]
	s_xor_b64 s[2:3], exec, s[4:5]
	s_cbranch_execnz .LBB7_783
; %bb.271:
	s_or_saveexec_b64 s[2:3], s[2:3]
	v_mov_b32_e32 v153, s7
	s_xor_b64 exec, exec, s[2:3]
	s_cbranch_execnz .LBB7_786
.LBB7_272:
	s_or_b64 exec, exec, s[2:3]
	s_and_saveexec_b64 s[2:3], s[0:1]
	s_cbranch_execz .LBB7_274
.LBB7_273:
	v_mov_b32_e32 v82, 7
	v_and_b32_sdwa v82, v78, v82 dst_sel:DWORD dst_unused:UNUSED_PAD src0_sel:BYTE_1 src1_sel:DWORD
	v_ffbh_u32_e32 v85, v82
	v_min_u32_e32 v85, 32, v85
	v_lshrrev_b16_e32 v84, 11, v78
	v_subrev_u32_e32 v153, 28, v85
	v_and_b32_e32 v84, 15, v84
	v_lshlrev_b32_e32 v153, v153, v82
	v_sub_u32_e32 v85, 29, v85
	v_and_b32_e32 v153, 7, v153
	v_cmp_eq_u16_e32 vcc, 0, v84
	v_lshrrev_b16_e32 v83, 15, v78
	v_cndmask_b32_e32 v82, v82, v153, vcc
	v_cndmask_b32_e32 v84, v84, v85, vcc
	v_mov_b32_e32 v85, 0x3b800000
	v_lshlrev_b32_e32 v82, 20, v82
	v_lshlrev_b32_e32 v83, 31, v83
	v_lshl_add_u32 v84, v84, 23, v85
	v_or3_b32 v153, v83, v84, v82
.LBB7_274:
	s_or_b64 exec, exec, s[2:3]
	s_movk_i32 s0, 0xff
	v_and_b32_sdwa v82, v78, s0 dst_sel:DWORD dst_unused:UNUSED_PAD src0_sel:WORD_1 src1_sel:DWORD
	s_movk_i32 s0, 0x7f
	v_cmp_lt_i16_e32 vcc, s0, v82
	s_mov_b64 s[0:1], 0
                                        ; implicit-def: $sgpr7
	s_and_saveexec_b64 s[2:3], vcc
	s_xor_b64 s[2:3], exec, s[2:3]
	s_cbranch_execnz .LBB7_787
; %bb.275:
	s_or_saveexec_b64 s[2:3], s[2:3]
	v_mov_b32_e32 v154, s7
	s_xor_b64 exec, exec, s[2:3]
	s_cbranch_execnz .LBB7_790
.LBB7_276:
	s_or_b64 exec, exec, s[2:3]
	s_and_saveexec_b64 s[2:3], s[0:1]
	s_cbranch_execz .LBB7_278
.LBB7_277:
	v_mov_b32_e32 v82, 7
	v_and_b32_sdwa v83, v78, v82 dst_sel:DWORD dst_unused:UNUSED_PAD src0_sel:WORD_1 src1_sel:DWORD
	v_ffbh_u32_e32 v85, v83
	v_mov_b32_e32 v84, 3
	v_min_u32_e32 v85, 32, v85
	v_lshrrev_b16_sdwa v84, v84, v78 dst_sel:DWORD dst_unused:UNUSED_PAD src0_sel:DWORD src1_sel:WORD_1
	v_subrev_u32_e32 v154, 28, v85
	v_and_b32_e32 v84, 15, v84
	v_lshlrev_b32_e32 v154, v154, v83
	v_sub_u32_e32 v85, 29, v85
	v_and_b32_e32 v154, 7, v154
	v_cmp_eq_u16_e32 vcc, 0, v84
	v_lshrrev_b16_sdwa v82, v82, v78 dst_sel:DWORD dst_unused:UNUSED_PAD src0_sel:DWORD src1_sel:WORD_1
	v_cndmask_b32_e32 v83, v83, v154, vcc
	v_cndmask_b32_e32 v84, v84, v85, vcc
	v_mov_b32_e32 v85, 0x3b800000
	v_lshlrev_b32_e32 v83, 20, v83
	v_lshlrev_b32_e32 v82, 31, v82
	v_lshl_add_u32 v84, v84, 23, v85
	v_or3_b32 v154, v82, v84, v83
.LBB7_278:
	s_or_b64 exec, exec, s[2:3]
	v_mov_b32_e32 v82, 8
	v_lshrrev_b16_sdwa v82, v82, v78 dst_sel:DWORD dst_unused:UNUSED_PAD src0_sel:DWORD src1_sel:WORD_1
	s_movk_i32 s0, 0x7f
	v_cmp_lt_i16_e32 vcc, s0, v82
	s_mov_b64 s[0:1], 0
                                        ; implicit-def: $sgpr7
	s_and_saveexec_b64 s[2:3], vcc
	s_xor_b64 s[2:3], exec, s[2:3]
	s_cbranch_execnz .LBB7_791
; %bb.279:
	s_or_saveexec_b64 s[2:3], s[2:3]
	v_mov_b32_e32 v155, s7
	s_xor_b64 exec, exec, s[2:3]
	s_cbranch_execnz .LBB7_794
.LBB7_280:
	s_or_b64 exec, exec, s[2:3]
	s_and_saveexec_b64 s[2:3], s[0:1]
	s_cbranch_execz .LBB7_282
.LBB7_281:
	v_mov_b32_e32 v82, 8
	v_lshrrev_b16_sdwa v82, v82, v78 dst_sel:DWORD dst_unused:UNUSED_PAD src0_sel:DWORD src1_sel:WORD_1
	v_and_b32_e32 v82, 7, v82
	v_mov_b32_e32 v83, 15
	v_mov_b32_e32 v84, 11
	v_lshrrev_b16_sdwa v83, v83, v78 dst_sel:DWORD dst_unused:UNUSED_PAD src0_sel:DWORD src1_sel:WORD_1
	v_lshrrev_b16_sdwa v78, v84, v78 dst_sel:DWORD dst_unused:UNUSED_PAD src0_sel:DWORD src1_sel:WORD_1
	v_ffbh_u32_e32 v84, v82
	v_min_u32_e32 v84, 32, v84
	v_subrev_u32_e32 v85, 28, v84
	v_and_b32_e32 v78, 15, v78
	v_lshlrev_b32_e32 v85, v85, v82
	v_sub_u32_e32 v84, 29, v84
	v_and_b32_e32 v85, 7, v85
	v_cmp_eq_u16_e32 vcc, 0, v78
	v_cndmask_b32_e32 v82, v82, v85, vcc
	v_cndmask_b32_e32 v78, v78, v84, vcc
	v_mov_b32_e32 v84, 0x3b800000
	v_lshlrev_b32_e32 v82, 20, v82
	v_lshlrev_b32_e32 v83, 31, v83
	v_lshl_add_u32 v78, v78, 23, v84
	v_or3_b32 v155, v83, v78, v82
.LBB7_282:
	s_or_b64 exec, exec, s[2:3]
	s_movk_i32 s0, 0x7f
	v_cmp_gt_i16_sdwa s[2:3], v79, s0 src0_sel:BYTE_0 src1_sel:DWORD
	s_mov_b64 s[0:1], 0
                                        ; implicit-def: $sgpr7
	s_and_saveexec_b64 s[4:5], s[2:3]
	s_xor_b64 s[2:3], exec, s[4:5]
	s_cbranch_execnz .LBB7_795
; %bb.283:
	s_or_saveexec_b64 s[2:3], s[2:3]
	v_mov_b32_e32 v78, s7
	s_xor_b64 exec, exec, s[2:3]
	s_cbranch_execnz .LBB7_798
.LBB7_284:
	s_or_b64 exec, exec, s[2:3]
	s_and_saveexec_b64 s[2:3], s[0:1]
	s_cbranch_execz .LBB7_286
.LBB7_285:
	v_and_b32_e32 v78, 7, v79
	v_ffbh_u32_e32 v84, v78
	v_min_u32_e32 v84, 32, v84
	v_lshrrev_b16_e32 v83, 3, v79
	v_subrev_u32_e32 v85, 28, v84
	v_and_b32_e32 v83, 15, v83
	v_lshlrev_b32_e32 v85, v85, v78
	v_sub_u32_e32 v84, 29, v84
	v_and_b32_e32 v85, 7, v85
	v_cmp_eq_u16_e32 vcc, 0, v83
	v_lshrrev_b16_e32 v82, 7, v79
	v_cndmask_b32_e32 v78, v78, v85, vcc
	v_cndmask_b32_e32 v83, v83, v84, vcc
	v_mov_b32_e32 v84, 0x3b800000
	v_lshlrev_b32_e32 v78, 20, v78
	v_lshlrev_b32_e32 v82, 31, v82
	v_lshl_add_u32 v83, v83, 23, v84
	v_or3_b32 v78, v82, v83, v78
.LBB7_286:
	s_or_b64 exec, exec, s[2:3]
	s_movk_i32 s0, 0x7f
	v_cmp_gt_i16_sdwa s[2:3], v79, s0 src0_sel:BYTE_1 src1_sel:DWORD
	s_mov_b64 s[0:1], 0
                                        ; implicit-def: $sgpr7
	s_and_saveexec_b64 s[4:5], s[2:3]
	s_xor_b64 s[2:3], exec, s[4:5]
	s_cbranch_execnz .LBB7_799
; %bb.287:
	s_or_saveexec_b64 s[2:3], s[2:3]
	v_mov_b32_e32 v156, s7
	s_xor_b64 exec, exec, s[2:3]
	s_cbranch_execnz .LBB7_802
.LBB7_288:
	s_or_b64 exec, exec, s[2:3]
	s_and_saveexec_b64 s[2:3], s[0:1]
	s_cbranch_execz .LBB7_290
.LBB7_289:
	v_mov_b32_e32 v82, 7
	v_and_b32_sdwa v82, v79, v82 dst_sel:DWORD dst_unused:UNUSED_PAD src0_sel:BYTE_1 src1_sel:DWORD
	v_ffbh_u32_e32 v85, v82
	v_min_u32_e32 v85, 32, v85
	v_lshrrev_b16_e32 v84, 11, v79
	v_subrev_u32_e32 v156, 28, v85
	v_and_b32_e32 v84, 15, v84
	v_lshlrev_b32_e32 v156, v156, v82
	v_sub_u32_e32 v85, 29, v85
	v_and_b32_e32 v156, 7, v156
	v_cmp_eq_u16_e32 vcc, 0, v84
	v_lshrrev_b16_e32 v83, 15, v79
	v_cndmask_b32_e32 v82, v82, v156, vcc
	v_cndmask_b32_e32 v84, v84, v85, vcc
	v_mov_b32_e32 v85, 0x3b800000
	v_lshlrev_b32_e32 v82, 20, v82
	v_lshlrev_b32_e32 v83, 31, v83
	v_lshl_add_u32 v84, v84, 23, v85
	v_or3_b32 v156, v83, v84, v82
.LBB7_290:
	s_or_b64 exec, exec, s[2:3]
	s_movk_i32 s0, 0xff
	v_and_b32_sdwa v82, v79, s0 dst_sel:DWORD dst_unused:UNUSED_PAD src0_sel:WORD_1 src1_sel:DWORD
	s_movk_i32 s0, 0x7f
	v_cmp_lt_i16_e32 vcc, s0, v82
	s_mov_b64 s[0:1], 0
                                        ; implicit-def: $sgpr7
	s_and_saveexec_b64 s[2:3], vcc
	s_xor_b64 s[2:3], exec, s[2:3]
	s_cbranch_execnz .LBB7_803
; %bb.291:
	s_or_saveexec_b64 s[2:3], s[2:3]
	v_mov_b32_e32 v157, s7
	s_xor_b64 exec, exec, s[2:3]
	s_cbranch_execnz .LBB7_806
.LBB7_292:
	s_or_b64 exec, exec, s[2:3]
	s_and_saveexec_b64 s[2:3], s[0:1]
	s_cbranch_execz .LBB7_294
.LBB7_293:
	v_mov_b32_e32 v82, 7
	v_and_b32_sdwa v83, v79, v82 dst_sel:DWORD dst_unused:UNUSED_PAD src0_sel:WORD_1 src1_sel:DWORD
	v_ffbh_u32_e32 v85, v83
	v_mov_b32_e32 v84, 3
	v_min_u32_e32 v85, 32, v85
	v_lshrrev_b16_sdwa v84, v84, v79 dst_sel:DWORD dst_unused:UNUSED_PAD src0_sel:DWORD src1_sel:WORD_1
	v_subrev_u32_e32 v157, 28, v85
	v_and_b32_e32 v84, 15, v84
	v_lshlrev_b32_e32 v157, v157, v83
	v_sub_u32_e32 v85, 29, v85
	v_and_b32_e32 v157, 7, v157
	v_cmp_eq_u16_e32 vcc, 0, v84
	v_lshrrev_b16_sdwa v82, v82, v79 dst_sel:DWORD dst_unused:UNUSED_PAD src0_sel:DWORD src1_sel:WORD_1
	v_cndmask_b32_e32 v83, v83, v157, vcc
	v_cndmask_b32_e32 v84, v84, v85, vcc
	v_mov_b32_e32 v85, 0x3b800000
	v_lshlrev_b32_e32 v83, 20, v83
	v_lshlrev_b32_e32 v82, 31, v82
	v_lshl_add_u32 v84, v84, 23, v85
	v_or3_b32 v157, v82, v84, v83
.LBB7_294:
	s_or_b64 exec, exec, s[2:3]
	v_mov_b32_e32 v82, 8
	v_lshrrev_b16_sdwa v82, v82, v79 dst_sel:DWORD dst_unused:UNUSED_PAD src0_sel:DWORD src1_sel:WORD_1
	s_movk_i32 s0, 0x7f
	v_cmp_lt_i16_e32 vcc, s0, v82
	s_mov_b64 s[0:1], 0
                                        ; implicit-def: $sgpr7
	s_and_saveexec_b64 s[2:3], vcc
	s_xor_b64 s[2:3], exec, s[2:3]
	s_cbranch_execnz .LBB7_807
; %bb.295:
	s_or_saveexec_b64 s[2:3], s[2:3]
	v_mov_b32_e32 v158, s7
	s_xor_b64 exec, exec, s[2:3]
	s_cbranch_execnz .LBB7_810
.LBB7_296:
	s_or_b64 exec, exec, s[2:3]
	s_and_saveexec_b64 s[2:3], s[0:1]
	s_cbranch_execz .LBB7_298
.LBB7_297:
	v_mov_b32_e32 v82, 8
	v_lshrrev_b16_sdwa v82, v82, v79 dst_sel:DWORD dst_unused:UNUSED_PAD src0_sel:DWORD src1_sel:WORD_1
	v_and_b32_e32 v82, 7, v82
	v_mov_b32_e32 v83, 15
	v_mov_b32_e32 v84, 11
	v_lshrrev_b16_sdwa v83, v83, v79 dst_sel:DWORD dst_unused:UNUSED_PAD src0_sel:DWORD src1_sel:WORD_1
	v_lshrrev_b16_sdwa v79, v84, v79 dst_sel:DWORD dst_unused:UNUSED_PAD src0_sel:DWORD src1_sel:WORD_1
	v_ffbh_u32_e32 v84, v82
	v_min_u32_e32 v84, 32, v84
	v_subrev_u32_e32 v85, 28, v84
	v_and_b32_e32 v79, 15, v79
	v_lshlrev_b32_e32 v85, v85, v82
	v_sub_u32_e32 v84, 29, v84
	v_and_b32_e32 v85, 7, v85
	v_cmp_eq_u16_e32 vcc, 0, v79
	v_cndmask_b32_e32 v82, v82, v85, vcc
	v_cndmask_b32_e32 v79, v79, v84, vcc
	v_mov_b32_e32 v84, 0x3b800000
	v_lshlrev_b32_e32 v82, 20, v82
	v_lshlrev_b32_e32 v83, 31, v83
	v_lshl_add_u32 v79, v79, 23, v84
	v_or3_b32 v158, v83, v79, v82
.LBB7_298:
	s_or_b64 exec, exec, s[2:3]
	s_movk_i32 s0, 0x7f
	v_cmp_gt_i16_sdwa s[2:3], v80, s0 src0_sel:BYTE_0 src1_sel:DWORD
	s_mov_b64 s[0:1], 0
                                        ; implicit-def: $sgpr7
	s_and_saveexec_b64 s[4:5], s[2:3]
	s_xor_b64 s[2:3], exec, s[4:5]
	s_cbranch_execnz .LBB7_811
; %bb.299:
	s_or_saveexec_b64 s[2:3], s[2:3]
	v_mov_b32_e32 v79, s7
	s_xor_b64 exec, exec, s[2:3]
	s_cbranch_execnz .LBB7_814
.LBB7_300:
	s_or_b64 exec, exec, s[2:3]
	s_and_saveexec_b64 s[2:3], s[0:1]
	s_cbranch_execz .LBB7_302
.LBB7_301:
	v_and_b32_e32 v79, 7, v80
	v_ffbh_u32_e32 v84, v79
	v_min_u32_e32 v84, 32, v84
	v_lshrrev_b16_e32 v83, 3, v80
	v_subrev_u32_e32 v85, 28, v84
	v_and_b32_e32 v83, 15, v83
	v_lshlrev_b32_e32 v85, v85, v79
	v_sub_u32_e32 v84, 29, v84
	v_and_b32_e32 v85, 7, v85
	v_cmp_eq_u16_e32 vcc, 0, v83
	v_lshrrev_b16_e32 v82, 7, v80
	v_cndmask_b32_e32 v79, v79, v85, vcc
	v_cndmask_b32_e32 v83, v83, v84, vcc
	v_mov_b32_e32 v84, 0x3b800000
	v_lshlrev_b32_e32 v79, 20, v79
	v_lshlrev_b32_e32 v82, 31, v82
	v_lshl_add_u32 v83, v83, 23, v84
	v_or3_b32 v79, v82, v83, v79
.LBB7_302:
	s_or_b64 exec, exec, s[2:3]
	s_movk_i32 s0, 0x7f
	v_cmp_gt_i16_sdwa s[2:3], v80, s0 src0_sel:BYTE_1 src1_sel:DWORD
	s_mov_b64 s[0:1], 0
                                        ; implicit-def: $sgpr7
	s_and_saveexec_b64 s[4:5], s[2:3]
	s_xor_b64 s[2:3], exec, s[4:5]
	s_cbranch_execnz .LBB7_815
; %bb.303:
	s_or_saveexec_b64 s[2:3], s[2:3]
	v_mov_b32_e32 v159, s7
	s_xor_b64 exec, exec, s[2:3]
	s_cbranch_execnz .LBB7_818
.LBB7_304:
	s_or_b64 exec, exec, s[2:3]
	s_and_saveexec_b64 s[2:3], s[0:1]
	s_cbranch_execz .LBB7_306
.LBB7_305:
	v_mov_b32_e32 v82, 7
	v_and_b32_sdwa v82, v80, v82 dst_sel:DWORD dst_unused:UNUSED_PAD src0_sel:BYTE_1 src1_sel:DWORD
	v_ffbh_u32_e32 v85, v82
	v_min_u32_e32 v85, 32, v85
	v_lshrrev_b16_e32 v84, 11, v80
	v_subrev_u32_e32 v159, 28, v85
	v_and_b32_e32 v84, 15, v84
	v_lshlrev_b32_e32 v159, v159, v82
	v_sub_u32_e32 v85, 29, v85
	v_and_b32_e32 v159, 7, v159
	v_cmp_eq_u16_e32 vcc, 0, v84
	v_lshrrev_b16_e32 v83, 15, v80
	v_cndmask_b32_e32 v82, v82, v159, vcc
	v_cndmask_b32_e32 v84, v84, v85, vcc
	v_mov_b32_e32 v85, 0x3b800000
	v_lshlrev_b32_e32 v82, 20, v82
	v_lshlrev_b32_e32 v83, 31, v83
	v_lshl_add_u32 v84, v84, 23, v85
	v_or3_b32 v159, v83, v84, v82
.LBB7_306:
	s_or_b64 exec, exec, s[2:3]
	s_movk_i32 s0, 0xff
	v_and_b32_sdwa v82, v80, s0 dst_sel:DWORD dst_unused:UNUSED_PAD src0_sel:WORD_1 src1_sel:DWORD
	s_movk_i32 s0, 0x7f
	v_cmp_lt_i16_e32 vcc, s0, v82
	s_mov_b64 s[0:1], 0
                                        ; implicit-def: $sgpr7
	s_and_saveexec_b64 s[2:3], vcc
	s_xor_b64 s[2:3], exec, s[2:3]
	s_cbranch_execnz .LBB7_819
; %bb.307:
	s_or_saveexec_b64 s[2:3], s[2:3]
	v_mov_b32_e32 v160, s7
	s_xor_b64 exec, exec, s[2:3]
	s_cbranch_execnz .LBB7_822
.LBB7_308:
	s_or_b64 exec, exec, s[2:3]
	s_and_saveexec_b64 s[2:3], s[0:1]
	s_cbranch_execz .LBB7_310
.LBB7_309:
	v_mov_b32_e32 v82, 7
	v_and_b32_sdwa v83, v80, v82 dst_sel:DWORD dst_unused:UNUSED_PAD src0_sel:WORD_1 src1_sel:DWORD
	v_ffbh_u32_e32 v85, v83
	v_mov_b32_e32 v84, 3
	v_min_u32_e32 v85, 32, v85
	v_lshrrev_b16_sdwa v84, v84, v80 dst_sel:DWORD dst_unused:UNUSED_PAD src0_sel:DWORD src1_sel:WORD_1
	v_subrev_u32_e32 v160, 28, v85
	v_and_b32_e32 v84, 15, v84
	v_lshlrev_b32_e32 v160, v160, v83
	v_sub_u32_e32 v85, 29, v85
	v_and_b32_e32 v160, 7, v160
	v_cmp_eq_u16_e32 vcc, 0, v84
	v_lshrrev_b16_sdwa v82, v82, v80 dst_sel:DWORD dst_unused:UNUSED_PAD src0_sel:DWORD src1_sel:WORD_1
	v_cndmask_b32_e32 v83, v83, v160, vcc
	v_cndmask_b32_e32 v84, v84, v85, vcc
	v_mov_b32_e32 v85, 0x3b800000
	v_lshlrev_b32_e32 v83, 20, v83
	v_lshlrev_b32_e32 v82, 31, v82
	v_lshl_add_u32 v84, v84, 23, v85
	v_or3_b32 v160, v82, v84, v83
.LBB7_310:
	s_or_b64 exec, exec, s[2:3]
	v_mov_b32_e32 v82, 8
	v_lshrrev_b16_sdwa v82, v82, v80 dst_sel:DWORD dst_unused:UNUSED_PAD src0_sel:DWORD src1_sel:WORD_1
	s_movk_i32 s0, 0x7f
	v_cmp_lt_i16_e32 vcc, s0, v82
	s_mov_b64 s[0:1], 0
                                        ; implicit-def: $sgpr7
	s_and_saveexec_b64 s[2:3], vcc
	s_xor_b64 s[2:3], exec, s[2:3]
	s_cbranch_execnz .LBB7_823
; %bb.311:
	s_or_saveexec_b64 s[2:3], s[2:3]
	v_mov_b32_e32 v161, s7
	s_xor_b64 exec, exec, s[2:3]
	s_cbranch_execnz .LBB7_826
.LBB7_312:
	s_or_b64 exec, exec, s[2:3]
	s_and_saveexec_b64 s[2:3], s[0:1]
	s_cbranch_execz .LBB7_314
.LBB7_313:
	v_mov_b32_e32 v82, 8
	v_lshrrev_b16_sdwa v82, v82, v80 dst_sel:DWORD dst_unused:UNUSED_PAD src0_sel:DWORD src1_sel:WORD_1
	v_and_b32_e32 v82, 7, v82
	v_mov_b32_e32 v83, 15
	v_mov_b32_e32 v84, 11
	v_lshrrev_b16_sdwa v83, v83, v80 dst_sel:DWORD dst_unused:UNUSED_PAD src0_sel:DWORD src1_sel:WORD_1
	v_lshrrev_b16_sdwa v80, v84, v80 dst_sel:DWORD dst_unused:UNUSED_PAD src0_sel:DWORD src1_sel:WORD_1
	v_ffbh_u32_e32 v84, v82
	v_min_u32_e32 v84, 32, v84
	v_subrev_u32_e32 v85, 28, v84
	v_and_b32_e32 v80, 15, v80
	v_lshlrev_b32_e32 v85, v85, v82
	v_sub_u32_e32 v84, 29, v84
	v_and_b32_e32 v85, 7, v85
	v_cmp_eq_u16_e32 vcc, 0, v80
	v_cndmask_b32_e32 v82, v82, v85, vcc
	v_cndmask_b32_e32 v80, v80, v84, vcc
	v_mov_b32_e32 v84, 0x3b800000
	v_lshlrev_b32_e32 v82, 20, v82
	v_lshlrev_b32_e32 v83, 31, v83
	v_lshl_add_u32 v80, v80, 23, v84
	v_or3_b32 v161, v83, v80, v82
.LBB7_314:
	s_or_b64 exec, exec, s[2:3]
	s_movk_i32 s0, 0x7f
	v_cmp_gt_i16_sdwa s[2:3], v81, s0 src0_sel:BYTE_0 src1_sel:DWORD
	s_mov_b64 s[0:1], 0
                                        ; implicit-def: $sgpr7
	s_and_saveexec_b64 s[4:5], s[2:3]
	s_xor_b64 s[2:3], exec, s[4:5]
	s_cbranch_execnz .LBB7_827
; %bb.315:
	s_or_saveexec_b64 s[2:3], s[2:3]
	v_mov_b32_e32 v80, s7
	s_xor_b64 exec, exec, s[2:3]
	s_cbranch_execnz .LBB7_830
.LBB7_316:
	s_or_b64 exec, exec, s[2:3]
	s_and_saveexec_b64 s[2:3], s[0:1]
	s_cbranch_execz .LBB7_318
.LBB7_317:
	v_and_b32_e32 v80, 7, v81
	v_ffbh_u32_e32 v84, v80
	v_min_u32_e32 v84, 32, v84
	v_lshrrev_b16_e32 v83, 3, v81
	v_subrev_u32_e32 v85, 28, v84
	v_and_b32_e32 v83, 15, v83
	v_lshlrev_b32_e32 v85, v85, v80
	v_sub_u32_e32 v84, 29, v84
	v_and_b32_e32 v85, 7, v85
	v_cmp_eq_u16_e32 vcc, 0, v83
	v_lshrrev_b16_e32 v82, 7, v81
	v_cndmask_b32_e32 v80, v80, v85, vcc
	v_cndmask_b32_e32 v83, v83, v84, vcc
	v_mov_b32_e32 v84, 0x3b800000
	v_lshlrev_b32_e32 v80, 20, v80
	v_lshlrev_b32_e32 v82, 31, v82
	v_lshl_add_u32 v83, v83, 23, v84
	v_or3_b32 v80, v82, v83, v80
.LBB7_318:
	s_or_b64 exec, exec, s[2:3]
	s_movk_i32 s0, 0x7f
	v_cmp_gt_i16_sdwa s[2:3], v81, s0 src0_sel:BYTE_1 src1_sel:DWORD
	s_mov_b64 s[0:1], 0
                                        ; implicit-def: $sgpr7
	s_and_saveexec_b64 s[4:5], s[2:3]
	s_xor_b64 s[2:3], exec, s[4:5]
	s_cbranch_execnz .LBB7_831
; %bb.319:
	s_or_saveexec_b64 s[2:3], s[2:3]
	v_mov_b32_e32 v162, s7
	s_xor_b64 exec, exec, s[2:3]
	s_cbranch_execnz .LBB7_834
.LBB7_320:
	s_or_b64 exec, exec, s[2:3]
	s_and_saveexec_b64 s[2:3], s[0:1]
	s_cbranch_execz .LBB7_322
.LBB7_321:
	v_mov_b32_e32 v82, 7
	v_and_b32_sdwa v82, v81, v82 dst_sel:DWORD dst_unused:UNUSED_PAD src0_sel:BYTE_1 src1_sel:DWORD
	v_ffbh_u32_e32 v85, v82
	v_min_u32_e32 v85, 32, v85
	v_lshrrev_b16_e32 v84, 11, v81
	v_subrev_u32_e32 v162, 28, v85
	v_and_b32_e32 v84, 15, v84
	v_lshlrev_b32_e32 v162, v162, v82
	v_sub_u32_e32 v85, 29, v85
	v_and_b32_e32 v162, 7, v162
	v_cmp_eq_u16_e32 vcc, 0, v84
	v_lshrrev_b16_e32 v83, 15, v81
	v_cndmask_b32_e32 v82, v82, v162, vcc
	v_cndmask_b32_e32 v84, v84, v85, vcc
	v_mov_b32_e32 v85, 0x3b800000
	v_lshlrev_b32_e32 v82, 20, v82
	v_lshlrev_b32_e32 v83, 31, v83
	v_lshl_add_u32 v84, v84, 23, v85
	v_or3_b32 v162, v83, v84, v82
.LBB7_322:
	s_or_b64 exec, exec, s[2:3]
	s_movk_i32 s0, 0xff
	v_and_b32_sdwa v82, v81, s0 dst_sel:DWORD dst_unused:UNUSED_PAD src0_sel:WORD_1 src1_sel:DWORD
	s_movk_i32 s0, 0x7f
	v_cmp_lt_i16_e32 vcc, s0, v82
	s_mov_b64 s[0:1], 0
                                        ; implicit-def: $sgpr7
	s_and_saveexec_b64 s[2:3], vcc
	s_xor_b64 s[2:3], exec, s[2:3]
	s_cbranch_execnz .LBB7_835
; %bb.323:
	s_or_saveexec_b64 s[2:3], s[2:3]
	v_mov_b32_e32 v163, s7
	s_xor_b64 exec, exec, s[2:3]
	s_cbranch_execnz .LBB7_838
.LBB7_324:
	s_or_b64 exec, exec, s[2:3]
	s_and_saveexec_b64 s[2:3], s[0:1]
	s_cbranch_execz .LBB7_326
.LBB7_325:
	v_mov_b32_e32 v82, 7
	v_and_b32_sdwa v83, v81, v82 dst_sel:DWORD dst_unused:UNUSED_PAD src0_sel:WORD_1 src1_sel:DWORD
	v_ffbh_u32_e32 v85, v83
	v_mov_b32_e32 v84, 3
	v_min_u32_e32 v85, 32, v85
	v_lshrrev_b16_sdwa v84, v84, v81 dst_sel:DWORD dst_unused:UNUSED_PAD src0_sel:DWORD src1_sel:WORD_1
	v_subrev_u32_e32 v163, 28, v85
	v_and_b32_e32 v84, 15, v84
	v_lshlrev_b32_e32 v163, v163, v83
	v_sub_u32_e32 v85, 29, v85
	v_and_b32_e32 v163, 7, v163
	v_cmp_eq_u16_e32 vcc, 0, v84
	v_lshrrev_b16_sdwa v82, v82, v81 dst_sel:DWORD dst_unused:UNUSED_PAD src0_sel:DWORD src1_sel:WORD_1
	v_cndmask_b32_e32 v83, v83, v163, vcc
	v_cndmask_b32_e32 v84, v84, v85, vcc
	v_mov_b32_e32 v85, 0x3b800000
	v_lshlrev_b32_e32 v83, 20, v83
	v_lshlrev_b32_e32 v82, 31, v82
	v_lshl_add_u32 v84, v84, 23, v85
	v_or3_b32 v163, v82, v84, v83
.LBB7_326:
	s_or_b64 exec, exec, s[2:3]
	v_mov_b32_e32 v82, 8
	v_lshrrev_b16_sdwa v82, v82, v81 dst_sel:DWORD dst_unused:UNUSED_PAD src0_sel:DWORD src1_sel:WORD_1
	s_movk_i32 s0, 0x7f
	v_cmp_lt_i16_e32 vcc, s0, v82
	s_mov_b64 s[0:1], 0
                                        ; implicit-def: $sgpr7
	s_and_saveexec_b64 s[2:3], vcc
	s_xor_b64 s[2:3], exec, s[2:3]
	s_cbranch_execnz .LBB7_839
; %bb.327:
	s_or_saveexec_b64 s[2:3], s[2:3]
	v_mov_b32_e32 v164, s7
	s_xor_b64 exec, exec, s[2:3]
	s_cbranch_execnz .LBB7_842
.LBB7_328:
	s_or_b64 exec, exec, s[2:3]
	s_and_saveexec_b64 s[2:3], s[0:1]
	s_cbranch_execz .LBB7_330
.LBB7_329:
	v_mov_b32_e32 v82, 8
	v_lshrrev_b16_sdwa v82, v82, v81 dst_sel:DWORD dst_unused:UNUSED_PAD src0_sel:DWORD src1_sel:WORD_1
	v_and_b32_e32 v82, 7, v82
	v_mov_b32_e32 v83, 15
	v_mov_b32_e32 v84, 11
	v_lshrrev_b16_sdwa v83, v83, v81 dst_sel:DWORD dst_unused:UNUSED_PAD src0_sel:DWORD src1_sel:WORD_1
	v_lshrrev_b16_sdwa v81, v84, v81 dst_sel:DWORD dst_unused:UNUSED_PAD src0_sel:DWORD src1_sel:WORD_1
	v_ffbh_u32_e32 v84, v82
	v_min_u32_e32 v84, 32, v84
	v_subrev_u32_e32 v85, 28, v84
	v_and_b32_e32 v81, 15, v81
	v_lshlrev_b32_e32 v85, v85, v82
	v_sub_u32_e32 v84, 29, v84
	v_and_b32_e32 v85, 7, v85
	v_cmp_eq_u16_e32 vcc, 0, v81
	v_cndmask_b32_e32 v82, v82, v85, vcc
	v_cndmask_b32_e32 v81, v81, v84, vcc
	v_mov_b32_e32 v84, 0x3b800000
	v_lshlrev_b32_e32 v82, 20, v82
	v_lshlrev_b32_e32 v83, 31, v83
	v_lshl_add_u32 v81, v81, 23, v84
	v_or3_b32 v164, v83, v81, v82
.LBB7_330:
	s_or_b64 exec, exec, s[2:3]
	s_movk_i32 s0, 0x7f
	s_waitcnt lgkmcnt(10)
	v_cmp_gt_i16_sdwa s[2:3], v74, s0 src0_sel:BYTE_0 src1_sel:DWORD
	s_mov_b64 s[0:1], 0
                                        ; implicit-def: $sgpr7
	s_and_saveexec_b64 s[4:5], s[2:3]
	s_xor_b64 s[2:3], exec, s[4:5]
	s_cbranch_execnz .LBB7_843
; %bb.331:
	s_or_saveexec_b64 s[2:3], s[2:3]
	v_mov_b32_e32 v81, s7
	s_xor_b64 exec, exec, s[2:3]
	s_cbranch_execnz .LBB7_846
.LBB7_332:
	s_or_b64 exec, exec, s[2:3]
	s_and_saveexec_b64 s[2:3], s[0:1]
	s_cbranch_execz .LBB7_334
.LBB7_333:
	v_and_b32_e32 v81, 7, v74
	v_ffbh_u32_e32 v84, v81
	v_min_u32_e32 v84, 32, v84
	v_lshrrev_b16_e32 v83, 3, v74
	v_subrev_u32_e32 v85, 28, v84
	v_and_b32_e32 v83, 15, v83
	v_lshlrev_b32_e32 v85, v85, v81
	v_sub_u32_e32 v84, 29, v84
	v_and_b32_e32 v85, 7, v85
	v_cmp_eq_u16_e32 vcc, 0, v83
	v_lshrrev_b16_e32 v82, 7, v74
	v_cndmask_b32_e32 v81, v81, v85, vcc
	v_cndmask_b32_e32 v83, v83, v84, vcc
	v_mov_b32_e32 v84, 0x3b800000
	v_lshlrev_b32_e32 v81, 20, v81
	v_lshlrev_b32_e32 v82, 31, v82
	v_lshl_add_u32 v83, v83, 23, v84
	v_or3_b32 v81, v82, v83, v81
.LBB7_334:
	s_or_b64 exec, exec, s[2:3]
	s_movk_i32 s0, 0x7f
	v_cmp_gt_i16_sdwa s[2:3], v74, s0 src0_sel:BYTE_1 src1_sel:DWORD
	s_mov_b64 s[0:1], 0
                                        ; implicit-def: $sgpr7
	s_and_saveexec_b64 s[4:5], s[2:3]
	s_xor_b64 s[2:3], exec, s[4:5]
	s_cbranch_execnz .LBB7_847
; %bb.335:
	s_or_saveexec_b64 s[2:3], s[2:3]
	v_mov_b32_e32 v165, s7
	s_xor_b64 exec, exec, s[2:3]
	s_cbranch_execnz .LBB7_850
.LBB7_336:
	s_or_b64 exec, exec, s[2:3]
	s_and_saveexec_b64 s[2:3], s[0:1]
	s_cbranch_execz .LBB7_338
.LBB7_337:
	v_mov_b32_e32 v82, 7
	v_and_b32_sdwa v82, v74, v82 dst_sel:DWORD dst_unused:UNUSED_PAD src0_sel:BYTE_1 src1_sel:DWORD
	v_ffbh_u32_e32 v85, v82
	v_min_u32_e32 v85, 32, v85
	v_lshrrev_b16_e32 v84, 11, v74
	v_subrev_u32_e32 v165, 28, v85
	v_and_b32_e32 v84, 15, v84
	v_lshlrev_b32_e32 v165, v165, v82
	v_sub_u32_e32 v85, 29, v85
	v_and_b32_e32 v165, 7, v165
	v_cmp_eq_u16_e32 vcc, 0, v84
	v_lshrrev_b16_e32 v83, 15, v74
	v_cndmask_b32_e32 v82, v82, v165, vcc
	v_cndmask_b32_e32 v84, v84, v85, vcc
	v_mov_b32_e32 v85, 0x3b800000
	v_lshlrev_b32_e32 v82, 20, v82
	v_lshlrev_b32_e32 v83, 31, v83
	v_lshl_add_u32 v84, v84, 23, v85
	v_or3_b32 v165, v83, v84, v82
.LBB7_338:
	s_or_b64 exec, exec, s[2:3]
	s_movk_i32 s0, 0xff
	v_and_b32_sdwa v82, v74, s0 dst_sel:DWORD dst_unused:UNUSED_PAD src0_sel:WORD_1 src1_sel:DWORD
	s_movk_i32 s0, 0x7f
	v_cmp_lt_i16_e32 vcc, s0, v82
	s_mov_b64 s[0:1], 0
                                        ; implicit-def: $sgpr7
	s_and_saveexec_b64 s[2:3], vcc
	s_xor_b64 s[2:3], exec, s[2:3]
	s_cbranch_execnz .LBB7_851
; %bb.339:
	s_or_saveexec_b64 s[2:3], s[2:3]
	v_mov_b32_e32 v166, s7
	s_xor_b64 exec, exec, s[2:3]
	s_cbranch_execnz .LBB7_854
.LBB7_340:
	s_or_b64 exec, exec, s[2:3]
	s_and_saveexec_b64 s[2:3], s[0:1]
	s_cbranch_execz .LBB7_342
.LBB7_341:
	v_mov_b32_e32 v82, 7
	v_and_b32_sdwa v83, v74, v82 dst_sel:DWORD dst_unused:UNUSED_PAD src0_sel:WORD_1 src1_sel:DWORD
	v_ffbh_u32_e32 v85, v83
	v_mov_b32_e32 v84, 3
	v_min_u32_e32 v85, 32, v85
	v_lshrrev_b16_sdwa v84, v84, v74 dst_sel:DWORD dst_unused:UNUSED_PAD src0_sel:DWORD src1_sel:WORD_1
	v_subrev_u32_e32 v166, 28, v85
	v_and_b32_e32 v84, 15, v84
	v_lshlrev_b32_e32 v166, v166, v83
	v_sub_u32_e32 v85, 29, v85
	v_and_b32_e32 v166, 7, v166
	v_cmp_eq_u16_e32 vcc, 0, v84
	v_lshrrev_b16_sdwa v82, v82, v74 dst_sel:DWORD dst_unused:UNUSED_PAD src0_sel:DWORD src1_sel:WORD_1
	v_cndmask_b32_e32 v83, v83, v166, vcc
	v_cndmask_b32_e32 v84, v84, v85, vcc
	v_mov_b32_e32 v85, 0x3b800000
	v_lshlrev_b32_e32 v83, 20, v83
	v_lshlrev_b32_e32 v82, 31, v82
	v_lshl_add_u32 v84, v84, 23, v85
	v_or3_b32 v166, v82, v84, v83
.LBB7_342:
	s_or_b64 exec, exec, s[2:3]
	v_mov_b32_e32 v82, 8
	v_lshrrev_b16_sdwa v82, v82, v74 dst_sel:DWORD dst_unused:UNUSED_PAD src0_sel:DWORD src1_sel:WORD_1
	s_movk_i32 s0, 0x7f
	v_cmp_lt_i16_e32 vcc, s0, v82
	s_mov_b64 s[0:1], 0
                                        ; implicit-def: $sgpr7
	s_and_saveexec_b64 s[2:3], vcc
	s_xor_b64 s[2:3], exec, s[2:3]
	s_cbranch_execnz .LBB7_855
; %bb.343:
	s_or_saveexec_b64 s[2:3], s[2:3]
	v_mov_b32_e32 v167, s7
	s_xor_b64 exec, exec, s[2:3]
	s_cbranch_execnz .LBB7_858
.LBB7_344:
	s_or_b64 exec, exec, s[2:3]
	s_and_saveexec_b64 s[2:3], s[0:1]
	s_cbranch_execz .LBB7_346
.LBB7_345:
	v_mov_b32_e32 v82, 8
	v_lshrrev_b16_sdwa v82, v82, v74 dst_sel:DWORD dst_unused:UNUSED_PAD src0_sel:DWORD src1_sel:WORD_1
	v_and_b32_e32 v82, 7, v82
	v_mov_b32_e32 v83, 15
	v_mov_b32_e32 v84, 11
	v_lshrrev_b16_sdwa v83, v83, v74 dst_sel:DWORD dst_unused:UNUSED_PAD src0_sel:DWORD src1_sel:WORD_1
	v_lshrrev_b16_sdwa v74, v84, v74 dst_sel:DWORD dst_unused:UNUSED_PAD src0_sel:DWORD src1_sel:WORD_1
	v_ffbh_u32_e32 v84, v82
	v_min_u32_e32 v84, 32, v84
	v_subrev_u32_e32 v85, 28, v84
	v_and_b32_e32 v74, 15, v74
	v_lshlrev_b32_e32 v85, v85, v82
	v_sub_u32_e32 v84, 29, v84
	v_and_b32_e32 v85, 7, v85
	v_cmp_eq_u16_e32 vcc, 0, v74
	v_cndmask_b32_e32 v82, v82, v85, vcc
	v_cndmask_b32_e32 v74, v74, v84, vcc
	v_mov_b32_e32 v84, 0x3b800000
	v_lshlrev_b32_e32 v82, 20, v82
	v_lshlrev_b32_e32 v83, 31, v83
	v_lshl_add_u32 v74, v74, 23, v84
	v_or3_b32 v167, v83, v74, v82
.LBB7_346:
	s_or_b64 exec, exec, s[2:3]
	s_movk_i32 s0, 0x7f
	v_cmp_gt_i16_sdwa s[2:3], v75, s0 src0_sel:BYTE_0 src1_sel:DWORD
	s_mov_b64 s[0:1], 0
                                        ; implicit-def: $sgpr7
	s_and_saveexec_b64 s[4:5], s[2:3]
	s_xor_b64 s[2:3], exec, s[4:5]
	s_cbranch_execnz .LBB7_859
; %bb.347:
	s_or_saveexec_b64 s[2:3], s[2:3]
	v_mov_b32_e32 v74, s7
	s_xor_b64 exec, exec, s[2:3]
	s_cbranch_execnz .LBB7_862
.LBB7_348:
	s_or_b64 exec, exec, s[2:3]
	s_and_saveexec_b64 s[2:3], s[0:1]
	s_cbranch_execz .LBB7_350
.LBB7_349:
	v_and_b32_e32 v74, 7, v75
	v_ffbh_u32_e32 v84, v74
	v_min_u32_e32 v84, 32, v84
	v_lshrrev_b16_e32 v83, 3, v75
	v_subrev_u32_e32 v85, 28, v84
	v_and_b32_e32 v83, 15, v83
	v_lshlrev_b32_e32 v85, v85, v74
	v_sub_u32_e32 v84, 29, v84
	v_and_b32_e32 v85, 7, v85
	v_cmp_eq_u16_e32 vcc, 0, v83
	v_lshrrev_b16_e32 v82, 7, v75
	v_cndmask_b32_e32 v74, v74, v85, vcc
	v_cndmask_b32_e32 v83, v83, v84, vcc
	v_mov_b32_e32 v84, 0x3b800000
	v_lshlrev_b32_e32 v74, 20, v74
	v_lshlrev_b32_e32 v82, 31, v82
	v_lshl_add_u32 v83, v83, 23, v84
	v_or3_b32 v74, v82, v83, v74
.LBB7_350:
	s_or_b64 exec, exec, s[2:3]
	s_movk_i32 s0, 0x7f
	v_cmp_gt_i16_sdwa s[2:3], v75, s0 src0_sel:BYTE_1 src1_sel:DWORD
	s_mov_b64 s[0:1], 0
                                        ; implicit-def: $sgpr7
	s_and_saveexec_b64 s[4:5], s[2:3]
	s_xor_b64 s[2:3], exec, s[4:5]
	s_cbranch_execnz .LBB7_863
; %bb.351:
	s_or_saveexec_b64 s[2:3], s[2:3]
	v_mov_b32_e32 v168, s7
	s_xor_b64 exec, exec, s[2:3]
	s_cbranch_execnz .LBB7_866
.LBB7_352:
	s_or_b64 exec, exec, s[2:3]
	s_and_saveexec_b64 s[2:3], s[0:1]
	s_cbranch_execz .LBB7_354
.LBB7_353:
	v_mov_b32_e32 v82, 7
	v_and_b32_sdwa v82, v75, v82 dst_sel:DWORD dst_unused:UNUSED_PAD src0_sel:BYTE_1 src1_sel:DWORD
	v_ffbh_u32_e32 v85, v82
	v_min_u32_e32 v85, 32, v85
	v_lshrrev_b16_e32 v84, 11, v75
	v_subrev_u32_e32 v168, 28, v85
	v_and_b32_e32 v84, 15, v84
	v_lshlrev_b32_e32 v168, v168, v82
	v_sub_u32_e32 v85, 29, v85
	v_and_b32_e32 v168, 7, v168
	v_cmp_eq_u16_e32 vcc, 0, v84
	v_lshrrev_b16_e32 v83, 15, v75
	v_cndmask_b32_e32 v82, v82, v168, vcc
	v_cndmask_b32_e32 v84, v84, v85, vcc
	v_mov_b32_e32 v85, 0x3b800000
	v_lshlrev_b32_e32 v82, 20, v82
	v_lshlrev_b32_e32 v83, 31, v83
	v_lshl_add_u32 v84, v84, 23, v85
	v_or3_b32 v168, v83, v84, v82
.LBB7_354:
	s_or_b64 exec, exec, s[2:3]
	s_movk_i32 s0, 0xff
	v_and_b32_sdwa v82, v75, s0 dst_sel:DWORD dst_unused:UNUSED_PAD src0_sel:WORD_1 src1_sel:DWORD
	s_movk_i32 s0, 0x7f
	v_cmp_lt_i16_e32 vcc, s0, v82
	s_mov_b64 s[0:1], 0
                                        ; implicit-def: $sgpr7
	s_and_saveexec_b64 s[2:3], vcc
	s_xor_b64 s[2:3], exec, s[2:3]
	s_cbranch_execnz .LBB7_867
; %bb.355:
	s_or_saveexec_b64 s[2:3], s[2:3]
	v_mov_b32_e32 v169, s7
	s_xor_b64 exec, exec, s[2:3]
	s_cbranch_execnz .LBB7_870
.LBB7_356:
	s_or_b64 exec, exec, s[2:3]
	s_and_saveexec_b64 s[2:3], s[0:1]
	s_cbranch_execz .LBB7_358
.LBB7_357:
	v_mov_b32_e32 v82, 7
	v_and_b32_sdwa v83, v75, v82 dst_sel:DWORD dst_unused:UNUSED_PAD src0_sel:WORD_1 src1_sel:DWORD
	v_ffbh_u32_e32 v85, v83
	v_mov_b32_e32 v84, 3
	v_min_u32_e32 v85, 32, v85
	v_lshrrev_b16_sdwa v84, v84, v75 dst_sel:DWORD dst_unused:UNUSED_PAD src0_sel:DWORD src1_sel:WORD_1
	v_subrev_u32_e32 v169, 28, v85
	v_and_b32_e32 v84, 15, v84
	v_lshlrev_b32_e32 v169, v169, v83
	v_sub_u32_e32 v85, 29, v85
	v_and_b32_e32 v169, 7, v169
	v_cmp_eq_u16_e32 vcc, 0, v84
	v_lshrrev_b16_sdwa v82, v82, v75 dst_sel:DWORD dst_unused:UNUSED_PAD src0_sel:DWORD src1_sel:WORD_1
	v_cndmask_b32_e32 v83, v83, v169, vcc
	v_cndmask_b32_e32 v84, v84, v85, vcc
	v_mov_b32_e32 v85, 0x3b800000
	v_lshlrev_b32_e32 v83, 20, v83
	v_lshlrev_b32_e32 v82, 31, v82
	v_lshl_add_u32 v84, v84, 23, v85
	v_or3_b32 v169, v82, v84, v83
.LBB7_358:
	s_or_b64 exec, exec, s[2:3]
	v_mov_b32_e32 v82, 8
	v_lshrrev_b16_sdwa v82, v82, v75 dst_sel:DWORD dst_unused:UNUSED_PAD src0_sel:DWORD src1_sel:WORD_1
	s_movk_i32 s0, 0x7f
	v_cmp_lt_i16_e32 vcc, s0, v82
	s_mov_b64 s[0:1], 0
                                        ; implicit-def: $sgpr7
	s_and_saveexec_b64 s[2:3], vcc
	s_xor_b64 s[2:3], exec, s[2:3]
	s_cbranch_execnz .LBB7_871
; %bb.359:
	s_or_saveexec_b64 s[2:3], s[2:3]
	v_mov_b32_e32 v170, s7
	s_xor_b64 exec, exec, s[2:3]
	s_cbranch_execnz .LBB7_874
.LBB7_360:
	s_or_b64 exec, exec, s[2:3]
	s_and_saveexec_b64 s[2:3], s[0:1]
	s_cbranch_execz .LBB7_362
.LBB7_361:
	v_mov_b32_e32 v82, 8
	v_lshrrev_b16_sdwa v82, v82, v75 dst_sel:DWORD dst_unused:UNUSED_PAD src0_sel:DWORD src1_sel:WORD_1
	v_and_b32_e32 v82, 7, v82
	v_mov_b32_e32 v83, 15
	v_mov_b32_e32 v84, 11
	v_lshrrev_b16_sdwa v83, v83, v75 dst_sel:DWORD dst_unused:UNUSED_PAD src0_sel:DWORD src1_sel:WORD_1
	v_lshrrev_b16_sdwa v75, v84, v75 dst_sel:DWORD dst_unused:UNUSED_PAD src0_sel:DWORD src1_sel:WORD_1
	v_ffbh_u32_e32 v84, v82
	v_min_u32_e32 v84, 32, v84
	v_subrev_u32_e32 v85, 28, v84
	v_and_b32_e32 v75, 15, v75
	v_lshlrev_b32_e32 v85, v85, v82
	v_sub_u32_e32 v84, 29, v84
	v_and_b32_e32 v85, 7, v85
	v_cmp_eq_u16_e32 vcc, 0, v75
	v_cndmask_b32_e32 v82, v82, v85, vcc
	v_cndmask_b32_e32 v75, v75, v84, vcc
	v_mov_b32_e32 v84, 0x3b800000
	v_lshlrev_b32_e32 v82, 20, v82
	v_lshlrev_b32_e32 v83, 31, v83
	v_lshl_add_u32 v75, v75, 23, v84
	v_or3_b32 v170, v83, v75, v82
.LBB7_362:
	s_or_b64 exec, exec, s[2:3]
	s_movk_i32 s0, 0x7f
	v_cmp_gt_i16_sdwa s[2:3], v76, s0 src0_sel:BYTE_0 src1_sel:DWORD
	s_mov_b64 s[0:1], 0
                                        ; implicit-def: $sgpr7
	s_and_saveexec_b64 s[4:5], s[2:3]
	s_xor_b64 s[2:3], exec, s[4:5]
	s_cbranch_execnz .LBB7_875
; %bb.363:
	s_or_saveexec_b64 s[2:3], s[2:3]
	v_mov_b32_e32 v75, s7
	s_xor_b64 exec, exec, s[2:3]
	s_cbranch_execnz .LBB7_878
.LBB7_364:
	s_or_b64 exec, exec, s[2:3]
	s_and_saveexec_b64 s[2:3], s[0:1]
	s_cbranch_execz .LBB7_366
.LBB7_365:
	v_and_b32_e32 v75, 7, v76
	v_ffbh_u32_e32 v84, v75
	v_min_u32_e32 v84, 32, v84
	v_lshrrev_b16_e32 v83, 3, v76
	v_subrev_u32_e32 v85, 28, v84
	v_and_b32_e32 v83, 15, v83
	v_lshlrev_b32_e32 v85, v85, v75
	v_sub_u32_e32 v84, 29, v84
	v_and_b32_e32 v85, 7, v85
	v_cmp_eq_u16_e32 vcc, 0, v83
	v_lshrrev_b16_e32 v82, 7, v76
	v_cndmask_b32_e32 v75, v75, v85, vcc
	v_cndmask_b32_e32 v83, v83, v84, vcc
	v_mov_b32_e32 v84, 0x3b800000
	v_lshlrev_b32_e32 v75, 20, v75
	v_lshlrev_b32_e32 v82, 31, v82
	v_lshl_add_u32 v83, v83, 23, v84
	v_or3_b32 v75, v82, v83, v75
.LBB7_366:
	s_or_b64 exec, exec, s[2:3]
	s_movk_i32 s0, 0x7f
	v_cmp_gt_i16_sdwa s[2:3], v76, s0 src0_sel:BYTE_1 src1_sel:DWORD
	s_mov_b64 s[0:1], 0
                                        ; implicit-def: $sgpr7
	s_and_saveexec_b64 s[4:5], s[2:3]
	s_xor_b64 s[2:3], exec, s[4:5]
	s_cbranch_execnz .LBB7_879
; %bb.367:
	s_or_saveexec_b64 s[2:3], s[2:3]
	v_mov_b32_e32 v171, s7
	s_xor_b64 exec, exec, s[2:3]
	s_cbranch_execnz .LBB7_882
.LBB7_368:
	s_or_b64 exec, exec, s[2:3]
	s_and_saveexec_b64 s[2:3], s[0:1]
	s_cbranch_execz .LBB7_370
.LBB7_369:
	v_mov_b32_e32 v82, 7
	v_and_b32_sdwa v82, v76, v82 dst_sel:DWORD dst_unused:UNUSED_PAD src0_sel:BYTE_1 src1_sel:DWORD
	v_ffbh_u32_e32 v85, v82
	v_min_u32_e32 v85, 32, v85
	v_lshrrev_b16_e32 v84, 11, v76
	v_subrev_u32_e32 v171, 28, v85
	v_and_b32_e32 v84, 15, v84
	v_lshlrev_b32_e32 v171, v171, v82
	v_sub_u32_e32 v85, 29, v85
	v_and_b32_e32 v171, 7, v171
	v_cmp_eq_u16_e32 vcc, 0, v84
	v_lshrrev_b16_e32 v83, 15, v76
	v_cndmask_b32_e32 v82, v82, v171, vcc
	v_cndmask_b32_e32 v84, v84, v85, vcc
	v_mov_b32_e32 v85, 0x3b800000
	v_lshlrev_b32_e32 v82, 20, v82
	v_lshlrev_b32_e32 v83, 31, v83
	v_lshl_add_u32 v84, v84, 23, v85
	v_or3_b32 v171, v83, v84, v82
.LBB7_370:
	s_or_b64 exec, exec, s[2:3]
	s_movk_i32 s0, 0xff
	v_and_b32_sdwa v82, v76, s0 dst_sel:DWORD dst_unused:UNUSED_PAD src0_sel:WORD_1 src1_sel:DWORD
	s_movk_i32 s0, 0x7f
	v_cmp_lt_i16_e32 vcc, s0, v82
	s_mov_b64 s[0:1], 0
                                        ; implicit-def: $sgpr7
	s_and_saveexec_b64 s[2:3], vcc
	s_xor_b64 s[2:3], exec, s[2:3]
	s_cbranch_execnz .LBB7_883
; %bb.371:
	s_or_saveexec_b64 s[2:3], s[2:3]
	v_mov_b32_e32 v172, s7
	s_xor_b64 exec, exec, s[2:3]
	s_cbranch_execnz .LBB7_886
.LBB7_372:
	s_or_b64 exec, exec, s[2:3]
	s_and_saveexec_b64 s[2:3], s[0:1]
	s_cbranch_execz .LBB7_374
.LBB7_373:
	v_mov_b32_e32 v82, 7
	v_and_b32_sdwa v83, v76, v82 dst_sel:DWORD dst_unused:UNUSED_PAD src0_sel:WORD_1 src1_sel:DWORD
	v_ffbh_u32_e32 v85, v83
	v_mov_b32_e32 v84, 3
	v_min_u32_e32 v85, 32, v85
	v_lshrrev_b16_sdwa v84, v84, v76 dst_sel:DWORD dst_unused:UNUSED_PAD src0_sel:DWORD src1_sel:WORD_1
	v_subrev_u32_e32 v172, 28, v85
	v_and_b32_e32 v84, 15, v84
	v_lshlrev_b32_e32 v172, v172, v83
	v_sub_u32_e32 v85, 29, v85
	v_and_b32_e32 v172, 7, v172
	v_cmp_eq_u16_e32 vcc, 0, v84
	v_lshrrev_b16_sdwa v82, v82, v76 dst_sel:DWORD dst_unused:UNUSED_PAD src0_sel:DWORD src1_sel:WORD_1
	v_cndmask_b32_e32 v83, v83, v172, vcc
	v_cndmask_b32_e32 v84, v84, v85, vcc
	v_mov_b32_e32 v85, 0x3b800000
	v_lshlrev_b32_e32 v83, 20, v83
	v_lshlrev_b32_e32 v82, 31, v82
	v_lshl_add_u32 v84, v84, 23, v85
	v_or3_b32 v172, v82, v84, v83
.LBB7_374:
	s_or_b64 exec, exec, s[2:3]
	v_mov_b32_e32 v82, 8
	v_lshrrev_b16_sdwa v82, v82, v76 dst_sel:DWORD dst_unused:UNUSED_PAD src0_sel:DWORD src1_sel:WORD_1
	s_movk_i32 s0, 0x7f
	v_cmp_lt_i16_e32 vcc, s0, v82
	s_mov_b64 s[0:1], 0
                                        ; implicit-def: $sgpr7
	s_and_saveexec_b64 s[2:3], vcc
	s_xor_b64 s[2:3], exec, s[2:3]
	s_cbranch_execnz .LBB7_887
; %bb.375:
	s_or_saveexec_b64 s[2:3], s[2:3]
	v_mov_b32_e32 v173, s7
	s_xor_b64 exec, exec, s[2:3]
	s_cbranch_execnz .LBB7_890
.LBB7_376:
	s_or_b64 exec, exec, s[2:3]
	s_and_saveexec_b64 s[2:3], s[0:1]
	s_cbranch_execz .LBB7_378
.LBB7_377:
	v_mov_b32_e32 v82, 8
	v_lshrrev_b16_sdwa v82, v82, v76 dst_sel:DWORD dst_unused:UNUSED_PAD src0_sel:DWORD src1_sel:WORD_1
	v_and_b32_e32 v82, 7, v82
	v_mov_b32_e32 v83, 15
	v_mov_b32_e32 v84, 11
	v_lshrrev_b16_sdwa v83, v83, v76 dst_sel:DWORD dst_unused:UNUSED_PAD src0_sel:DWORD src1_sel:WORD_1
	v_lshrrev_b16_sdwa v76, v84, v76 dst_sel:DWORD dst_unused:UNUSED_PAD src0_sel:DWORD src1_sel:WORD_1
	v_ffbh_u32_e32 v84, v82
	v_min_u32_e32 v84, 32, v84
	v_subrev_u32_e32 v85, 28, v84
	v_and_b32_e32 v76, 15, v76
	v_lshlrev_b32_e32 v85, v85, v82
	v_sub_u32_e32 v84, 29, v84
	v_and_b32_e32 v85, 7, v85
	v_cmp_eq_u16_e32 vcc, 0, v76
	v_cndmask_b32_e32 v82, v82, v85, vcc
	v_cndmask_b32_e32 v76, v76, v84, vcc
	v_mov_b32_e32 v84, 0x3b800000
	v_lshlrev_b32_e32 v82, 20, v82
	v_lshlrev_b32_e32 v83, 31, v83
	v_lshl_add_u32 v76, v76, 23, v84
	v_or3_b32 v173, v83, v76, v82
.LBB7_378:
	s_or_b64 exec, exec, s[2:3]
	s_movk_i32 s0, 0x7f
	v_cmp_gt_i16_sdwa s[2:3], v77, s0 src0_sel:BYTE_0 src1_sel:DWORD
	s_mov_b64 s[0:1], 0
                                        ; implicit-def: $sgpr7
	s_and_saveexec_b64 s[4:5], s[2:3]
	s_xor_b64 s[2:3], exec, s[4:5]
	s_cbranch_execnz .LBB7_891
; %bb.379:
	s_or_saveexec_b64 s[2:3], s[2:3]
	v_mov_b32_e32 v76, s7
	s_xor_b64 exec, exec, s[2:3]
	s_cbranch_execnz .LBB7_894
.LBB7_380:
	s_or_b64 exec, exec, s[2:3]
	s_and_saveexec_b64 s[2:3], s[0:1]
	s_cbranch_execz .LBB7_382
.LBB7_381:
	v_and_b32_e32 v76, 7, v77
	v_ffbh_u32_e32 v84, v76
	v_min_u32_e32 v84, 32, v84
	v_lshrrev_b16_e32 v83, 3, v77
	v_subrev_u32_e32 v85, 28, v84
	v_and_b32_e32 v83, 15, v83
	v_lshlrev_b32_e32 v85, v85, v76
	v_sub_u32_e32 v84, 29, v84
	v_and_b32_e32 v85, 7, v85
	v_cmp_eq_u16_e32 vcc, 0, v83
	v_lshrrev_b16_e32 v82, 7, v77
	v_cndmask_b32_e32 v76, v76, v85, vcc
	v_cndmask_b32_e32 v83, v83, v84, vcc
	v_mov_b32_e32 v84, 0x3b800000
	v_lshlrev_b32_e32 v76, 20, v76
	v_lshlrev_b32_e32 v82, 31, v82
	v_lshl_add_u32 v83, v83, 23, v84
	v_or3_b32 v76, v82, v83, v76
.LBB7_382:
	s_or_b64 exec, exec, s[2:3]
	s_movk_i32 s0, 0x7f
	v_cmp_gt_i16_sdwa s[2:3], v77, s0 src0_sel:BYTE_1 src1_sel:DWORD
	s_mov_b64 s[0:1], 0
                                        ; implicit-def: $sgpr7
	s_and_saveexec_b64 s[4:5], s[2:3]
	s_xor_b64 s[2:3], exec, s[4:5]
	s_cbranch_execnz .LBB7_895
; %bb.383:
	s_or_saveexec_b64 s[2:3], s[2:3]
	v_mov_b32_e32 v174, s7
	s_xor_b64 exec, exec, s[2:3]
	s_cbranch_execnz .LBB7_898
.LBB7_384:
	s_or_b64 exec, exec, s[2:3]
	s_and_saveexec_b64 s[2:3], s[0:1]
	s_cbranch_execz .LBB7_386
.LBB7_385:
	v_mov_b32_e32 v82, 7
	v_and_b32_sdwa v82, v77, v82 dst_sel:DWORD dst_unused:UNUSED_PAD src0_sel:BYTE_1 src1_sel:DWORD
	v_ffbh_u32_e32 v85, v82
	v_min_u32_e32 v85, 32, v85
	v_lshrrev_b16_e32 v84, 11, v77
	v_subrev_u32_e32 v174, 28, v85
	v_and_b32_e32 v84, 15, v84
	v_lshlrev_b32_e32 v174, v174, v82
	v_sub_u32_e32 v85, 29, v85
	v_and_b32_e32 v174, 7, v174
	v_cmp_eq_u16_e32 vcc, 0, v84
	v_lshrrev_b16_e32 v83, 15, v77
	v_cndmask_b32_e32 v82, v82, v174, vcc
	v_cndmask_b32_e32 v84, v84, v85, vcc
	v_mov_b32_e32 v85, 0x3b800000
	v_lshlrev_b32_e32 v82, 20, v82
	v_lshlrev_b32_e32 v83, 31, v83
	v_lshl_add_u32 v84, v84, 23, v85
	v_or3_b32 v174, v83, v84, v82
.LBB7_386:
	s_or_b64 exec, exec, s[2:3]
	s_movk_i32 s0, 0xff
	v_and_b32_sdwa v82, v77, s0 dst_sel:DWORD dst_unused:UNUSED_PAD src0_sel:WORD_1 src1_sel:DWORD
	s_movk_i32 s0, 0x7f
	v_cmp_lt_i16_e32 vcc, s0, v82
	s_mov_b64 s[0:1], 0
                                        ; implicit-def: $sgpr7
	s_and_saveexec_b64 s[2:3], vcc
	s_xor_b64 s[2:3], exec, s[2:3]
	s_cbranch_execnz .LBB7_899
; %bb.387:
	s_or_saveexec_b64 s[2:3], s[2:3]
	v_mov_b32_e32 v175, s7
	s_xor_b64 exec, exec, s[2:3]
	s_cbranch_execnz .LBB7_902
.LBB7_388:
	s_or_b64 exec, exec, s[2:3]
	s_and_saveexec_b64 s[2:3], s[0:1]
	s_cbranch_execz .LBB7_390
.LBB7_389:
	v_mov_b32_e32 v82, 7
	v_and_b32_sdwa v83, v77, v82 dst_sel:DWORD dst_unused:UNUSED_PAD src0_sel:WORD_1 src1_sel:DWORD
	v_ffbh_u32_e32 v85, v83
	v_mov_b32_e32 v84, 3
	v_min_u32_e32 v85, 32, v85
	v_lshrrev_b16_sdwa v84, v84, v77 dst_sel:DWORD dst_unused:UNUSED_PAD src0_sel:DWORD src1_sel:WORD_1
	v_subrev_u32_e32 v175, 28, v85
	v_and_b32_e32 v84, 15, v84
	v_lshlrev_b32_e32 v175, v175, v83
	v_sub_u32_e32 v85, 29, v85
	v_and_b32_e32 v175, 7, v175
	v_cmp_eq_u16_e32 vcc, 0, v84
	v_lshrrev_b16_sdwa v82, v82, v77 dst_sel:DWORD dst_unused:UNUSED_PAD src0_sel:DWORD src1_sel:WORD_1
	v_cndmask_b32_e32 v83, v83, v175, vcc
	v_cndmask_b32_e32 v84, v84, v85, vcc
	v_mov_b32_e32 v85, 0x3b800000
	v_lshlrev_b32_e32 v83, 20, v83
	v_lshlrev_b32_e32 v82, 31, v82
	v_lshl_add_u32 v84, v84, 23, v85
	v_or3_b32 v175, v82, v84, v83
.LBB7_390:
	s_or_b64 exec, exec, s[2:3]
	v_mov_b32_e32 v82, 8
	v_lshrrev_b16_sdwa v82, v82, v77 dst_sel:DWORD dst_unused:UNUSED_PAD src0_sel:DWORD src1_sel:WORD_1
	s_movk_i32 s0, 0x7f
	v_cmp_lt_i16_e32 vcc, s0, v82
	s_mov_b64 s[0:1], 0
                                        ; implicit-def: $sgpr7
	s_and_saveexec_b64 s[2:3], vcc
	s_xor_b64 s[2:3], exec, s[2:3]
	s_cbranch_execnz .LBB7_903
; %bb.391:
	s_or_saveexec_b64 s[2:3], s[2:3]
	v_mov_b32_e32 v176, s7
	s_xor_b64 exec, exec, s[2:3]
	s_cbranch_execnz .LBB7_906
.LBB7_392:
	s_or_b64 exec, exec, s[2:3]
	s_and_saveexec_b64 s[2:3], s[0:1]
	s_cbranch_execz .LBB7_394
.LBB7_393:
	v_mov_b32_e32 v82, 8
	v_lshrrev_b16_sdwa v82, v82, v77 dst_sel:DWORD dst_unused:UNUSED_PAD src0_sel:DWORD src1_sel:WORD_1
	v_and_b32_e32 v82, 7, v82
	v_mov_b32_e32 v83, 15
	v_mov_b32_e32 v84, 11
	v_lshrrev_b16_sdwa v83, v83, v77 dst_sel:DWORD dst_unused:UNUSED_PAD src0_sel:DWORD src1_sel:WORD_1
	v_lshrrev_b16_sdwa v77, v84, v77 dst_sel:DWORD dst_unused:UNUSED_PAD src0_sel:DWORD src1_sel:WORD_1
	v_ffbh_u32_e32 v84, v82
	v_min_u32_e32 v84, 32, v84
	v_subrev_u32_e32 v85, 28, v84
	v_and_b32_e32 v77, 15, v77
	v_lshlrev_b32_e32 v85, v85, v82
	v_sub_u32_e32 v84, 29, v84
	v_and_b32_e32 v85, 7, v85
	v_cmp_eq_u16_e32 vcc, 0, v77
	v_cndmask_b32_e32 v82, v82, v85, vcc
	v_cndmask_b32_e32 v77, v77, v84, vcc
	v_mov_b32_e32 v84, 0x3b800000
	v_lshlrev_b32_e32 v82, 20, v82
	v_lshlrev_b32_e32 v83, 31, v83
	v_lshl_add_u32 v77, v77, 23, v84
	v_or3_b32 v176, v83, v77, v82
.LBB7_394:
	s_or_b64 exec, exec, s[2:3]
	s_movk_i32 s0, 0x7f
	s_waitcnt lgkmcnt(9)
	v_cmp_gt_i16_sdwa s[2:3], v70, s0 src0_sel:BYTE_0 src1_sel:DWORD
	s_mov_b64 s[0:1], 0
                                        ; implicit-def: $sgpr7
	s_and_saveexec_b64 s[4:5], s[2:3]
	s_xor_b64 s[2:3], exec, s[4:5]
	s_cbranch_execnz .LBB7_907
; %bb.395:
	s_or_saveexec_b64 s[2:3], s[2:3]
	v_mov_b32_e32 v77, s7
	s_xor_b64 exec, exec, s[2:3]
	s_cbranch_execnz .LBB7_910
.LBB7_396:
	s_or_b64 exec, exec, s[2:3]
	s_and_saveexec_b64 s[2:3], s[0:1]
	s_cbranch_execz .LBB7_398
.LBB7_397:
	v_and_b32_e32 v77, 7, v70
	v_ffbh_u32_e32 v84, v77
	v_min_u32_e32 v84, 32, v84
	v_lshrrev_b16_e32 v83, 3, v70
	v_subrev_u32_e32 v85, 28, v84
	v_and_b32_e32 v83, 15, v83
	v_lshlrev_b32_e32 v85, v85, v77
	v_sub_u32_e32 v84, 29, v84
	v_and_b32_e32 v85, 7, v85
	v_cmp_eq_u16_e32 vcc, 0, v83
	v_lshrrev_b16_e32 v82, 7, v70
	v_cndmask_b32_e32 v77, v77, v85, vcc
	v_cndmask_b32_e32 v83, v83, v84, vcc
	v_mov_b32_e32 v84, 0x3b800000
	v_lshlrev_b32_e32 v77, 20, v77
	v_lshlrev_b32_e32 v82, 31, v82
	v_lshl_add_u32 v83, v83, 23, v84
	v_or3_b32 v77, v82, v83, v77
.LBB7_398:
	s_or_b64 exec, exec, s[2:3]
	s_movk_i32 s0, 0x7f
	v_cmp_gt_i16_sdwa s[2:3], v70, s0 src0_sel:BYTE_1 src1_sel:DWORD
	s_mov_b64 s[0:1], 0
                                        ; implicit-def: $sgpr7
	s_and_saveexec_b64 s[4:5], s[2:3]
	s_xor_b64 s[2:3], exec, s[4:5]
	s_cbranch_execnz .LBB7_911
; %bb.399:
	s_or_saveexec_b64 s[2:3], s[2:3]
	v_mov_b32_e32 v177, s7
	s_xor_b64 exec, exec, s[2:3]
	s_cbranch_execnz .LBB7_914
.LBB7_400:
	s_or_b64 exec, exec, s[2:3]
	s_and_saveexec_b64 s[2:3], s[0:1]
	s_cbranch_execz .LBB7_402
.LBB7_401:
	v_mov_b32_e32 v82, 7
	v_and_b32_sdwa v82, v70, v82 dst_sel:DWORD dst_unused:UNUSED_PAD src0_sel:BYTE_1 src1_sel:DWORD
	v_ffbh_u32_e32 v85, v82
	v_min_u32_e32 v85, 32, v85
	v_lshrrev_b16_e32 v84, 11, v70
	v_subrev_u32_e32 v177, 28, v85
	v_and_b32_e32 v84, 15, v84
	v_lshlrev_b32_e32 v177, v177, v82
	v_sub_u32_e32 v85, 29, v85
	v_and_b32_e32 v177, 7, v177
	v_cmp_eq_u16_e32 vcc, 0, v84
	v_lshrrev_b16_e32 v83, 15, v70
	v_cndmask_b32_e32 v82, v82, v177, vcc
	v_cndmask_b32_e32 v84, v84, v85, vcc
	v_mov_b32_e32 v85, 0x3b800000
	v_lshlrev_b32_e32 v82, 20, v82
	v_lshlrev_b32_e32 v83, 31, v83
	v_lshl_add_u32 v84, v84, 23, v85
	v_or3_b32 v177, v83, v84, v82
.LBB7_402:
	s_or_b64 exec, exec, s[2:3]
	s_movk_i32 s0, 0xff
	v_and_b32_sdwa v82, v70, s0 dst_sel:DWORD dst_unused:UNUSED_PAD src0_sel:WORD_1 src1_sel:DWORD
	s_movk_i32 s0, 0x7f
	v_cmp_lt_i16_e32 vcc, s0, v82
	s_mov_b64 s[0:1], 0
                                        ; implicit-def: $sgpr7
	s_and_saveexec_b64 s[2:3], vcc
	s_xor_b64 s[2:3], exec, s[2:3]
	s_cbranch_execnz .LBB7_915
; %bb.403:
	s_or_saveexec_b64 s[2:3], s[2:3]
	v_mov_b32_e32 v178, s7
	s_xor_b64 exec, exec, s[2:3]
	s_cbranch_execnz .LBB7_918
.LBB7_404:
	s_or_b64 exec, exec, s[2:3]
	s_and_saveexec_b64 s[2:3], s[0:1]
	s_cbranch_execz .LBB7_406
.LBB7_405:
	v_mov_b32_e32 v82, 7
	v_and_b32_sdwa v83, v70, v82 dst_sel:DWORD dst_unused:UNUSED_PAD src0_sel:WORD_1 src1_sel:DWORD
	v_ffbh_u32_e32 v85, v83
	v_mov_b32_e32 v84, 3
	v_min_u32_e32 v85, 32, v85
	v_lshrrev_b16_sdwa v84, v84, v70 dst_sel:DWORD dst_unused:UNUSED_PAD src0_sel:DWORD src1_sel:WORD_1
	v_subrev_u32_e32 v178, 28, v85
	v_and_b32_e32 v84, 15, v84
	v_lshlrev_b32_e32 v178, v178, v83
	v_sub_u32_e32 v85, 29, v85
	v_and_b32_e32 v178, 7, v178
	v_cmp_eq_u16_e32 vcc, 0, v84
	v_lshrrev_b16_sdwa v82, v82, v70 dst_sel:DWORD dst_unused:UNUSED_PAD src0_sel:DWORD src1_sel:WORD_1
	v_cndmask_b32_e32 v83, v83, v178, vcc
	v_cndmask_b32_e32 v84, v84, v85, vcc
	v_mov_b32_e32 v85, 0x3b800000
	v_lshlrev_b32_e32 v83, 20, v83
	v_lshlrev_b32_e32 v82, 31, v82
	v_lshl_add_u32 v84, v84, 23, v85
	v_or3_b32 v178, v82, v84, v83
.LBB7_406:
	s_or_b64 exec, exec, s[2:3]
	v_mov_b32_e32 v82, 8
	v_lshrrev_b16_sdwa v82, v82, v70 dst_sel:DWORD dst_unused:UNUSED_PAD src0_sel:DWORD src1_sel:WORD_1
	s_movk_i32 s0, 0x7f
	v_cmp_lt_i16_e32 vcc, s0, v82
	s_mov_b64 s[0:1], 0
                                        ; implicit-def: $sgpr7
	s_and_saveexec_b64 s[2:3], vcc
	s_xor_b64 s[2:3], exec, s[2:3]
	s_cbranch_execnz .LBB7_919
; %bb.407:
	s_or_saveexec_b64 s[2:3], s[2:3]
	v_mov_b32_e32 v179, s7
	s_xor_b64 exec, exec, s[2:3]
	s_cbranch_execnz .LBB7_922
.LBB7_408:
	s_or_b64 exec, exec, s[2:3]
	s_and_saveexec_b64 s[2:3], s[0:1]
	s_cbranch_execz .LBB7_410
.LBB7_409:
	v_mov_b32_e32 v82, 8
	v_lshrrev_b16_sdwa v82, v82, v70 dst_sel:DWORD dst_unused:UNUSED_PAD src0_sel:DWORD src1_sel:WORD_1
	v_and_b32_e32 v82, 7, v82
	v_mov_b32_e32 v83, 15
	v_mov_b32_e32 v84, 11
	v_lshrrev_b16_sdwa v83, v83, v70 dst_sel:DWORD dst_unused:UNUSED_PAD src0_sel:DWORD src1_sel:WORD_1
	v_lshrrev_b16_sdwa v70, v84, v70 dst_sel:DWORD dst_unused:UNUSED_PAD src0_sel:DWORD src1_sel:WORD_1
	v_ffbh_u32_e32 v84, v82
	v_min_u32_e32 v84, 32, v84
	v_subrev_u32_e32 v85, 28, v84
	v_and_b32_e32 v70, 15, v70
	v_lshlrev_b32_e32 v85, v85, v82
	v_sub_u32_e32 v84, 29, v84
	v_and_b32_e32 v85, 7, v85
	v_cmp_eq_u16_e32 vcc, 0, v70
	v_cndmask_b32_e32 v82, v82, v85, vcc
	v_cndmask_b32_e32 v70, v70, v84, vcc
	v_mov_b32_e32 v84, 0x3b800000
	v_lshlrev_b32_e32 v82, 20, v82
	v_lshlrev_b32_e32 v83, 31, v83
	v_lshl_add_u32 v70, v70, 23, v84
	v_or3_b32 v179, v83, v70, v82
.LBB7_410:
	s_or_b64 exec, exec, s[2:3]
	s_movk_i32 s0, 0x7f
	v_cmp_gt_i16_sdwa s[2:3], v71, s0 src0_sel:BYTE_0 src1_sel:DWORD
	s_mov_b64 s[0:1], 0
                                        ; implicit-def: $sgpr7
	s_and_saveexec_b64 s[4:5], s[2:3]
	s_xor_b64 s[2:3], exec, s[4:5]
	s_cbranch_execnz .LBB7_923
; %bb.411:
	s_or_saveexec_b64 s[2:3], s[2:3]
	v_mov_b32_e32 v70, s7
	s_xor_b64 exec, exec, s[2:3]
	s_cbranch_execnz .LBB7_926
.LBB7_412:
	s_or_b64 exec, exec, s[2:3]
	s_and_saveexec_b64 s[2:3], s[0:1]
	s_cbranch_execz .LBB7_414
.LBB7_413:
	v_and_b32_e32 v70, 7, v71
	v_ffbh_u32_e32 v84, v70
	v_min_u32_e32 v84, 32, v84
	v_lshrrev_b16_e32 v83, 3, v71
	v_subrev_u32_e32 v85, 28, v84
	v_and_b32_e32 v83, 15, v83
	v_lshlrev_b32_e32 v85, v85, v70
	v_sub_u32_e32 v84, 29, v84
	v_and_b32_e32 v85, 7, v85
	v_cmp_eq_u16_e32 vcc, 0, v83
	v_lshrrev_b16_e32 v82, 7, v71
	v_cndmask_b32_e32 v70, v70, v85, vcc
	v_cndmask_b32_e32 v83, v83, v84, vcc
	v_mov_b32_e32 v84, 0x3b800000
	v_lshlrev_b32_e32 v70, 20, v70
	v_lshlrev_b32_e32 v82, 31, v82
	v_lshl_add_u32 v83, v83, 23, v84
	v_or3_b32 v70, v82, v83, v70
.LBB7_414:
	s_or_b64 exec, exec, s[2:3]
	s_movk_i32 s0, 0x7f
	v_cmp_gt_i16_sdwa s[2:3], v71, s0 src0_sel:BYTE_1 src1_sel:DWORD
	s_mov_b64 s[0:1], 0
                                        ; implicit-def: $sgpr7
	s_and_saveexec_b64 s[4:5], s[2:3]
	s_xor_b64 s[2:3], exec, s[4:5]
	s_cbranch_execnz .LBB7_927
; %bb.415:
	s_or_saveexec_b64 s[2:3], s[2:3]
	v_mov_b32_e32 v180, s7
	s_xor_b64 exec, exec, s[2:3]
	s_cbranch_execnz .LBB7_930
.LBB7_416:
	s_or_b64 exec, exec, s[2:3]
	s_and_saveexec_b64 s[2:3], s[0:1]
	s_cbranch_execz .LBB7_418
.LBB7_417:
	v_mov_b32_e32 v82, 7
	v_and_b32_sdwa v82, v71, v82 dst_sel:DWORD dst_unused:UNUSED_PAD src0_sel:BYTE_1 src1_sel:DWORD
	v_ffbh_u32_e32 v85, v82
	v_min_u32_e32 v85, 32, v85
	v_lshrrev_b16_e32 v84, 11, v71
	v_subrev_u32_e32 v180, 28, v85
	v_and_b32_e32 v84, 15, v84
	v_lshlrev_b32_e32 v180, v180, v82
	v_sub_u32_e32 v85, 29, v85
	v_and_b32_e32 v180, 7, v180
	v_cmp_eq_u16_e32 vcc, 0, v84
	v_lshrrev_b16_e32 v83, 15, v71
	v_cndmask_b32_e32 v82, v82, v180, vcc
	v_cndmask_b32_e32 v84, v84, v85, vcc
	v_mov_b32_e32 v85, 0x3b800000
	v_lshlrev_b32_e32 v82, 20, v82
	v_lshlrev_b32_e32 v83, 31, v83
	v_lshl_add_u32 v84, v84, 23, v85
	v_or3_b32 v180, v83, v84, v82
.LBB7_418:
	s_or_b64 exec, exec, s[2:3]
	s_movk_i32 s0, 0xff
	v_and_b32_sdwa v82, v71, s0 dst_sel:DWORD dst_unused:UNUSED_PAD src0_sel:WORD_1 src1_sel:DWORD
	s_movk_i32 s0, 0x7f
	v_cmp_lt_i16_e32 vcc, s0, v82
	s_mov_b64 s[0:1], 0
                                        ; implicit-def: $sgpr7
	s_and_saveexec_b64 s[2:3], vcc
	s_xor_b64 s[2:3], exec, s[2:3]
	s_cbranch_execnz .LBB7_931
; %bb.419:
	s_or_saveexec_b64 s[2:3], s[2:3]
	v_mov_b32_e32 v181, s7
	s_xor_b64 exec, exec, s[2:3]
	s_cbranch_execnz .LBB7_934
.LBB7_420:
	s_or_b64 exec, exec, s[2:3]
	s_and_saveexec_b64 s[2:3], s[0:1]
	s_cbranch_execz .LBB7_422
.LBB7_421:
	v_mov_b32_e32 v82, 7
	v_and_b32_sdwa v83, v71, v82 dst_sel:DWORD dst_unused:UNUSED_PAD src0_sel:WORD_1 src1_sel:DWORD
	v_ffbh_u32_e32 v85, v83
	v_mov_b32_e32 v84, 3
	v_min_u32_e32 v85, 32, v85
	v_lshrrev_b16_sdwa v84, v84, v71 dst_sel:DWORD dst_unused:UNUSED_PAD src0_sel:DWORD src1_sel:WORD_1
	v_subrev_u32_e32 v181, 28, v85
	v_and_b32_e32 v84, 15, v84
	v_lshlrev_b32_e32 v181, v181, v83
	v_sub_u32_e32 v85, 29, v85
	v_and_b32_e32 v181, 7, v181
	v_cmp_eq_u16_e32 vcc, 0, v84
	v_lshrrev_b16_sdwa v82, v82, v71 dst_sel:DWORD dst_unused:UNUSED_PAD src0_sel:DWORD src1_sel:WORD_1
	v_cndmask_b32_e32 v83, v83, v181, vcc
	v_cndmask_b32_e32 v84, v84, v85, vcc
	v_mov_b32_e32 v85, 0x3b800000
	v_lshlrev_b32_e32 v83, 20, v83
	v_lshlrev_b32_e32 v82, 31, v82
	v_lshl_add_u32 v84, v84, 23, v85
	v_or3_b32 v181, v82, v84, v83
.LBB7_422:
	s_or_b64 exec, exec, s[2:3]
	v_mov_b32_e32 v82, 8
	v_lshrrev_b16_sdwa v82, v82, v71 dst_sel:DWORD dst_unused:UNUSED_PAD src0_sel:DWORD src1_sel:WORD_1
	s_movk_i32 s0, 0x7f
	v_cmp_lt_i16_e32 vcc, s0, v82
	s_mov_b64 s[0:1], 0
                                        ; implicit-def: $sgpr7
	s_and_saveexec_b64 s[2:3], vcc
	s_xor_b64 s[2:3], exec, s[2:3]
	s_cbranch_execnz .LBB7_935
; %bb.423:
	s_or_saveexec_b64 s[2:3], s[2:3]
	v_mov_b32_e32 v182, s7
	s_xor_b64 exec, exec, s[2:3]
	s_cbranch_execnz .LBB7_938
.LBB7_424:
	s_or_b64 exec, exec, s[2:3]
	s_and_saveexec_b64 s[2:3], s[0:1]
	s_cbranch_execz .LBB7_426
.LBB7_425:
	v_mov_b32_e32 v82, 8
	v_lshrrev_b16_sdwa v82, v82, v71 dst_sel:DWORD dst_unused:UNUSED_PAD src0_sel:DWORD src1_sel:WORD_1
	v_and_b32_e32 v82, 7, v82
	v_mov_b32_e32 v83, 15
	v_mov_b32_e32 v84, 11
	v_lshrrev_b16_sdwa v83, v83, v71 dst_sel:DWORD dst_unused:UNUSED_PAD src0_sel:DWORD src1_sel:WORD_1
	v_lshrrev_b16_sdwa v71, v84, v71 dst_sel:DWORD dst_unused:UNUSED_PAD src0_sel:DWORD src1_sel:WORD_1
	v_ffbh_u32_e32 v84, v82
	v_min_u32_e32 v84, 32, v84
	v_subrev_u32_e32 v85, 28, v84
	v_and_b32_e32 v71, 15, v71
	v_lshlrev_b32_e32 v85, v85, v82
	v_sub_u32_e32 v84, 29, v84
	v_and_b32_e32 v85, 7, v85
	v_cmp_eq_u16_e32 vcc, 0, v71
	v_cndmask_b32_e32 v82, v82, v85, vcc
	v_cndmask_b32_e32 v71, v71, v84, vcc
	v_mov_b32_e32 v84, 0x3b800000
	v_lshlrev_b32_e32 v82, 20, v82
	v_lshlrev_b32_e32 v83, 31, v83
	v_lshl_add_u32 v71, v71, 23, v84
	v_or3_b32 v182, v83, v71, v82
.LBB7_426:
	s_or_b64 exec, exec, s[2:3]
	s_movk_i32 s0, 0x7f
	v_cmp_gt_i16_sdwa s[2:3], v72, s0 src0_sel:BYTE_0 src1_sel:DWORD
	s_mov_b64 s[0:1], 0
                                        ; implicit-def: $sgpr7
	s_and_saveexec_b64 s[4:5], s[2:3]
	s_xor_b64 s[2:3], exec, s[4:5]
	s_cbranch_execnz .LBB7_939
; %bb.427:
	s_or_saveexec_b64 s[2:3], s[2:3]
	v_mov_b32_e32 v71, s7
	s_xor_b64 exec, exec, s[2:3]
	s_cbranch_execnz .LBB7_942
.LBB7_428:
	s_or_b64 exec, exec, s[2:3]
	s_and_saveexec_b64 s[2:3], s[0:1]
	s_cbranch_execz .LBB7_430
.LBB7_429:
	v_and_b32_e32 v71, 7, v72
	v_ffbh_u32_e32 v84, v71
	v_min_u32_e32 v84, 32, v84
	v_lshrrev_b16_e32 v83, 3, v72
	v_subrev_u32_e32 v85, 28, v84
	v_and_b32_e32 v83, 15, v83
	v_lshlrev_b32_e32 v85, v85, v71
	v_sub_u32_e32 v84, 29, v84
	v_and_b32_e32 v85, 7, v85
	v_cmp_eq_u16_e32 vcc, 0, v83
	v_lshrrev_b16_e32 v82, 7, v72
	v_cndmask_b32_e32 v71, v71, v85, vcc
	v_cndmask_b32_e32 v83, v83, v84, vcc
	v_mov_b32_e32 v84, 0x3b800000
	v_lshlrev_b32_e32 v71, 20, v71
	v_lshlrev_b32_e32 v82, 31, v82
	v_lshl_add_u32 v83, v83, 23, v84
	v_or3_b32 v71, v82, v83, v71
.LBB7_430:
	s_or_b64 exec, exec, s[2:3]
	s_movk_i32 s0, 0x7f
	v_cmp_gt_i16_sdwa s[2:3], v72, s0 src0_sel:BYTE_1 src1_sel:DWORD
	s_mov_b64 s[0:1], 0
                                        ; implicit-def: $sgpr7
	s_and_saveexec_b64 s[4:5], s[2:3]
	s_xor_b64 s[2:3], exec, s[4:5]
	s_cbranch_execnz .LBB7_943
; %bb.431:
	s_or_saveexec_b64 s[2:3], s[2:3]
	v_mov_b32_e32 v84, s7
	s_xor_b64 exec, exec, s[2:3]
	s_cbranch_execnz .LBB7_946
.LBB7_432:
	s_or_b64 exec, exec, s[2:3]
	s_and_saveexec_b64 s[2:3], s[0:1]
	s_cbranch_execz .LBB7_434
.LBB7_433:
	v_mov_b32_e32 v82, 7
	v_and_b32_sdwa v82, v72, v82 dst_sel:DWORD dst_unused:UNUSED_PAD src0_sel:BYTE_1 src1_sel:DWORD
	v_ffbh_u32_e32 v85, v82
	v_min_u32_e32 v85, 32, v85
	v_lshrrev_b16_e32 v84, 11, v72
	v_subrev_u32_e32 v183, 28, v85
	v_and_b32_e32 v84, 15, v84
	v_lshlrev_b32_e32 v183, v183, v82
	v_sub_u32_e32 v85, 29, v85
	v_and_b32_e32 v183, 7, v183
	v_cmp_eq_u16_e32 vcc, 0, v84
	v_lshrrev_b16_e32 v83, 15, v72
	v_cndmask_b32_e32 v82, v82, v183, vcc
	v_cndmask_b32_e32 v84, v84, v85, vcc
	v_mov_b32_e32 v85, 0x3b800000
	v_lshlrev_b32_e32 v82, 20, v82
	v_lshlrev_b32_e32 v83, 31, v83
	v_lshl_add_u32 v84, v84, 23, v85
	v_or3_b32 v84, v83, v84, v82
.LBB7_434:
	s_or_b64 exec, exec, s[2:3]
	s_movk_i32 s0, 0xff
	v_and_b32_sdwa v82, v72, s0 dst_sel:DWORD dst_unused:UNUSED_PAD src0_sel:WORD_1 src1_sel:DWORD
	s_movk_i32 s0, 0x7f
	v_cmp_lt_i16_e32 vcc, s0, v82
	s_mov_b64 s[0:1], 0
                                        ; implicit-def: $sgpr7
	s_and_saveexec_b64 s[2:3], vcc
	s_xor_b64 s[2:3], exec, s[2:3]
	s_cbranch_execnz .LBB7_947
; %bb.435:
	s_or_saveexec_b64 s[2:3], s[2:3]
	v_mov_b32_e32 v85, s7
	s_xor_b64 exec, exec, s[2:3]
	s_cbranch_execnz .LBB7_950
.LBB7_436:
	s_or_b64 exec, exec, s[2:3]
	s_and_saveexec_b64 s[2:3], s[0:1]
	s_cbranch_execz .LBB7_438
.LBB7_437:
	v_mov_b32_e32 v82, 7
	v_and_b32_sdwa v83, v72, v82 dst_sel:DWORD dst_unused:UNUSED_PAD src0_sel:WORD_1 src1_sel:DWORD
	v_ffbh_u32_e32 v183, v83
	v_mov_b32_e32 v85, 3
	v_min_u32_e32 v183, 32, v183
	v_lshrrev_b16_sdwa v85, v85, v72 dst_sel:DWORD dst_unused:UNUSED_PAD src0_sel:DWORD src1_sel:WORD_1
	v_subrev_u32_e32 v184, 28, v183
	v_and_b32_e32 v85, 15, v85
	v_lshlrev_b32_e32 v184, v184, v83
	v_sub_u32_e32 v183, 29, v183
	v_and_b32_e32 v184, 7, v184
	v_cmp_eq_u16_e32 vcc, 0, v85
	v_lshrrev_b16_sdwa v82, v82, v72 dst_sel:DWORD dst_unused:UNUSED_PAD src0_sel:DWORD src1_sel:WORD_1
	v_cndmask_b32_e32 v83, v83, v184, vcc
	v_cndmask_b32_e32 v85, v85, v183, vcc
	v_mov_b32_e32 v183, 0x3b800000
	v_lshlrev_b32_e32 v83, 20, v83
	v_lshlrev_b32_e32 v82, 31, v82
	v_lshl_add_u32 v85, v85, 23, v183
	v_or3_b32 v85, v82, v85, v83
.LBB7_438:
	s_or_b64 exec, exec, s[2:3]
	v_mov_b32_e32 v82, 8
	v_lshrrev_b16_sdwa v82, v82, v72 dst_sel:DWORD dst_unused:UNUSED_PAD src0_sel:DWORD src1_sel:WORD_1
	s_movk_i32 s0, 0x7f
	v_cmp_lt_i16_e32 vcc, s0, v82
	s_mov_b64 s[0:1], 0
                                        ; implicit-def: $sgpr7
	s_and_saveexec_b64 s[2:3], vcc
	s_xor_b64 s[2:3], exec, s[2:3]
	s_cbranch_execnz .LBB7_951
; %bb.439:
	s_or_saveexec_b64 s[2:3], s[2:3]
	v_mov_b32_e32 v183, s7
	s_xor_b64 exec, exec, s[2:3]
	s_cbranch_execnz .LBB7_954
.LBB7_440:
	s_or_b64 exec, exec, s[2:3]
	s_and_saveexec_b64 s[2:3], s[0:1]
	s_cbranch_execz .LBB7_442
.LBB7_441:
	v_mov_b32_e32 v82, 8
	v_lshrrev_b16_sdwa v82, v82, v72 dst_sel:DWORD dst_unused:UNUSED_PAD src0_sel:DWORD src1_sel:WORD_1
	v_and_b32_e32 v82, 7, v82
	v_mov_b32_e32 v83, 15
	v_mov_b32_e32 v183, 11
	v_lshrrev_b16_sdwa v83, v83, v72 dst_sel:DWORD dst_unused:UNUSED_PAD src0_sel:DWORD src1_sel:WORD_1
	v_lshrrev_b16_sdwa v72, v183, v72 dst_sel:DWORD dst_unused:UNUSED_PAD src0_sel:DWORD src1_sel:WORD_1
	v_ffbh_u32_e32 v183, v82
	v_min_u32_e32 v183, 32, v183
	v_subrev_u32_e32 v184, 28, v183
	v_and_b32_e32 v72, 15, v72
	v_lshlrev_b32_e32 v184, v184, v82
	v_sub_u32_e32 v183, 29, v183
	v_and_b32_e32 v184, 7, v184
	v_cmp_eq_u16_e32 vcc, 0, v72
	v_cndmask_b32_e32 v82, v82, v184, vcc
	v_cndmask_b32_e32 v72, v72, v183, vcc
	v_mov_b32_e32 v183, 0x3b800000
	v_lshlrev_b32_e32 v82, 20, v82
	v_lshlrev_b32_e32 v83, 31, v83
	v_lshl_add_u32 v72, v72, 23, v183
	v_or3_b32 v183, v83, v72, v82
.LBB7_442:
	s_or_b64 exec, exec, s[2:3]
	s_movk_i32 s0, 0x7f
	v_cmp_gt_i16_sdwa s[2:3], v73, s0 src0_sel:BYTE_0 src1_sel:DWORD
	s_mov_b64 s[0:1], 0
                                        ; implicit-def: $sgpr7
	s_and_saveexec_b64 s[4:5], s[2:3]
	s_xor_b64 s[2:3], exec, s[4:5]
	s_cbranch_execnz .LBB7_955
; %bb.443:
	s_or_saveexec_b64 s[2:3], s[2:3]
	v_mov_b32_e32 v72, s7
	s_xor_b64 exec, exec, s[2:3]
	s_cbranch_execnz .LBB7_958
.LBB7_444:
	s_or_b64 exec, exec, s[2:3]
	s_and_saveexec_b64 s[2:3], s[0:1]
	s_cbranch_execz .LBB7_446
.LBB7_445:
	v_and_b32_e32 v72, 7, v73
	v_ffbh_u32_e32 v184, v72
	v_min_u32_e32 v184, 32, v184
	v_lshrrev_b16_e32 v83, 3, v73
	v_subrev_u32_e32 v185, 28, v184
	v_and_b32_e32 v83, 15, v83
	v_lshlrev_b32_e32 v185, v185, v72
	v_sub_u32_e32 v184, 29, v184
	v_and_b32_e32 v185, 7, v185
	v_cmp_eq_u16_e32 vcc, 0, v83
	v_lshrrev_b16_e32 v82, 7, v73
	v_cndmask_b32_e32 v72, v72, v185, vcc
	v_cndmask_b32_e32 v83, v83, v184, vcc
	v_mov_b32_e32 v184, 0x3b800000
	v_lshlrev_b32_e32 v72, 20, v72
	v_lshlrev_b32_e32 v82, 31, v82
	v_lshl_add_u32 v83, v83, 23, v184
	v_or3_b32 v72, v82, v83, v72
.LBB7_446:
	s_or_b64 exec, exec, s[2:3]
	s_movk_i32 s0, 0x7f
	v_cmp_gt_i16_sdwa s[2:3], v73, s0 src0_sel:BYTE_1 src1_sel:DWORD
	s_mov_b64 s[0:1], 0
                                        ; implicit-def: $sgpr7
	s_and_saveexec_b64 s[4:5], s[2:3]
	s_xor_b64 s[2:3], exec, s[4:5]
	s_cbranch_execnz .LBB7_959
; %bb.447:
	s_or_saveexec_b64 s[2:3], s[2:3]
	v_mov_b32_e32 v82, s7
	s_xor_b64 exec, exec, s[2:3]
	s_cbranch_execnz .LBB7_962
.LBB7_448:
	s_or_b64 exec, exec, s[2:3]
	s_and_saveexec_b64 s[2:3], s[0:1]
	s_cbranch_execz .LBB7_450
.LBB7_449:
	v_mov_b32_e32 v82, 7
	v_and_b32_sdwa v82, v73, v82 dst_sel:DWORD dst_unused:UNUSED_PAD src0_sel:BYTE_1 src1_sel:DWORD
	v_ffbh_u32_e32 v185, v82
	v_min_u32_e32 v185, 32, v185
	v_lshrrev_b16_e32 v184, 11, v73
	v_subrev_u32_e32 v186, 28, v185
	v_and_b32_e32 v184, 15, v184
	v_lshlrev_b32_e32 v186, v186, v82
	v_sub_u32_e32 v185, 29, v185
	v_and_b32_e32 v186, 7, v186
	v_cmp_eq_u16_e32 vcc, 0, v184
	v_lshrrev_b16_e32 v83, 15, v73
	v_cndmask_b32_e32 v82, v82, v186, vcc
	v_cndmask_b32_e32 v184, v184, v185, vcc
	v_mov_b32_e32 v185, 0x3b800000
	v_lshlrev_b32_e32 v82, 20, v82
	v_lshlrev_b32_e32 v83, 31, v83
	v_lshl_add_u32 v184, v184, 23, v185
	v_or3_b32 v82, v83, v184, v82
.LBB7_450:
	s_or_b64 exec, exec, s[2:3]
	s_movk_i32 s0, 0xff
	v_and_b32_sdwa v184, v73, s0 dst_sel:DWORD dst_unused:UNUSED_PAD src0_sel:WORD_1 src1_sel:DWORD
	s_movk_i32 s0, 0x7f
	v_cmp_lt_i16_e32 vcc, s0, v184
	s_mov_b64 s[0:1], 0
                                        ; implicit-def: $sgpr7
	s_and_saveexec_b64 s[2:3], vcc
	s_xor_b64 s[2:3], exec, s[2:3]
	s_cbranch_execnz .LBB7_963
; %bb.451:
	s_or_saveexec_b64 s[2:3], s[2:3]
	v_mov_b32_e32 v83, s7
	s_xor_b64 exec, exec, s[2:3]
	s_cbranch_execnz .LBB7_966
.LBB7_452:
	s_or_b64 exec, exec, s[2:3]
	s_and_saveexec_b64 s[2:3], s[0:1]
	s_cbranch_execz .LBB7_454
.LBB7_453:
	v_mov_b32_e32 v83, 7
	v_and_b32_sdwa v184, v73, v83 dst_sel:DWORD dst_unused:UNUSED_PAD src0_sel:WORD_1 src1_sel:DWORD
	v_ffbh_u32_e32 v186, v184
	v_mov_b32_e32 v185, 3
	v_min_u32_e32 v186, 32, v186
	v_lshrrev_b16_sdwa v185, v185, v73 dst_sel:DWORD dst_unused:UNUSED_PAD src0_sel:DWORD src1_sel:WORD_1
	v_subrev_u32_e32 v187, 28, v186
	v_and_b32_e32 v185, 15, v185
	v_lshlrev_b32_e32 v187, v187, v184
	v_sub_u32_e32 v186, 29, v186
	v_and_b32_e32 v187, 7, v187
	v_cmp_eq_u16_e32 vcc, 0, v185
	v_lshrrev_b16_sdwa v83, v83, v73 dst_sel:DWORD dst_unused:UNUSED_PAD src0_sel:DWORD src1_sel:WORD_1
	v_cndmask_b32_e32 v184, v184, v187, vcc
	v_cndmask_b32_e32 v185, v185, v186, vcc
	v_mov_b32_e32 v186, 0x3b800000
	v_lshlrev_b32_e32 v184, 20, v184
	v_lshlrev_b32_e32 v83, 31, v83
	v_lshl_add_u32 v185, v185, 23, v186
	v_or3_b32 v83, v83, v185, v184
.LBB7_454:
	s_or_b64 exec, exec, s[2:3]
	v_mov_b32_e32 v184, 8
	v_lshrrev_b16_sdwa v185, v184, v73 dst_sel:DWORD dst_unused:UNUSED_PAD src0_sel:DWORD src1_sel:WORD_1
	s_movk_i32 s0, 0x7f
	v_cmp_lt_i16_e32 vcc, s0, v185
	s_mov_b64 s[0:1], 0
                                        ; implicit-def: $sgpr7
	s_and_saveexec_b64 s[2:3], vcc
	s_xor_b64 s[2:3], exec, s[2:3]
	s_cbranch_execnz .LBB7_967
; %bb.455:
	s_or_saveexec_b64 s[2:3], s[2:3]
	v_mov_b32_e32 v184, s7
	s_xor_b64 exec, exec, s[2:3]
	s_cbranch_execnz .LBB7_970
.LBB7_456:
	s_or_b64 exec, exec, s[2:3]
	s_and_saveexec_b64 s[2:3], s[0:1]
	s_cbranch_execz .LBB7_458
.LBB7_457:
	v_mov_b32_e32 v184, 8
	v_lshrrev_b16_sdwa v184, v184, v73 dst_sel:DWORD dst_unused:UNUSED_PAD src0_sel:DWORD src1_sel:WORD_1
	v_and_b32_e32 v184, 7, v184
	v_mov_b32_e32 v185, 15
	v_mov_b32_e32 v186, 11
	v_lshrrev_b16_sdwa v185, v185, v73 dst_sel:DWORD dst_unused:UNUSED_PAD src0_sel:DWORD src1_sel:WORD_1
	v_lshrrev_b16_sdwa v73, v186, v73 dst_sel:DWORD dst_unused:UNUSED_PAD src0_sel:DWORD src1_sel:WORD_1
	v_ffbh_u32_e32 v186, v184
	v_min_u32_e32 v186, 32, v186
	v_subrev_u32_e32 v187, 28, v186
	v_and_b32_e32 v73, 15, v73
	v_lshlrev_b32_e32 v187, v187, v184
	v_sub_u32_e32 v186, 29, v186
	v_and_b32_e32 v187, 7, v187
	v_cmp_eq_u16_e32 vcc, 0, v73
	v_cndmask_b32_e32 v184, v184, v187, vcc
	v_cndmask_b32_e32 v73, v73, v186, vcc
	v_mov_b32_e32 v186, 0x3b800000
	v_lshlrev_b32_e32 v184, 20, v184
	v_lshlrev_b32_e32 v185, 31, v185
	v_lshl_add_u32 v73, v73, 23, v186
	v_or3_b32 v184, v185, v73, v184
.LBB7_458:
	s_or_b64 exec, exec, s[2:3]
	s_movk_i32 s0, 0x7f
	s_waitcnt lgkmcnt(8)
	v_cmp_gt_i16_sdwa s[2:3], v66, s0 src0_sel:BYTE_0 src1_sel:DWORD
	s_mov_b64 s[0:1], 0
                                        ; implicit-def: $sgpr7
	s_and_saveexec_b64 s[4:5], s[2:3]
	s_xor_b64 s[2:3], exec, s[4:5]
	s_cbranch_execnz .LBB7_971
; %bb.459:
	s_or_saveexec_b64 s[2:3], s[2:3]
	v_mov_b32_e32 v185, s7
	s_xor_b64 exec, exec, s[2:3]
	s_cbranch_execnz .LBB7_974
.LBB7_460:
	s_or_b64 exec, exec, s[2:3]
	s_and_saveexec_b64 s[2:3], s[0:1]
	s_cbranch_execz .LBB7_462
.LBB7_461:
	v_and_b32_e32 v73, 7, v66
	v_ffbh_u32_e32 v187, v73
	v_min_u32_e32 v187, 32, v187
	v_lshrrev_b16_e32 v186, 3, v66
	v_subrev_u32_e32 v188, 28, v187
	v_and_b32_e32 v186, 15, v186
	v_lshlrev_b32_e32 v188, v188, v73
	v_sub_u32_e32 v187, 29, v187
	v_and_b32_e32 v188, 7, v188
	v_cmp_eq_u16_e32 vcc, 0, v186
	v_lshrrev_b16_e32 v185, 7, v66
	v_cndmask_b32_e32 v73, v73, v188, vcc
	v_cndmask_b32_e32 v186, v186, v187, vcc
	v_mov_b32_e32 v187, 0x3b800000
	v_lshlrev_b32_e32 v73, 20, v73
	v_lshlrev_b32_e32 v185, 31, v185
	v_lshl_add_u32 v186, v186, 23, v187
	v_or3_b32 v185, v185, v186, v73
.LBB7_462:
	s_or_b64 exec, exec, s[2:3]
	s_movk_i32 s0, 0x7f
	v_cmp_gt_i16_sdwa s[2:3], v66, s0 src0_sel:BYTE_1 src1_sel:DWORD
	s_mov_b64 s[0:1], 0
                                        ; implicit-def: $sgpr7
	s_and_saveexec_b64 s[4:5], s[2:3]
	s_xor_b64 s[2:3], exec, s[4:5]
	s_cbranch_execnz .LBB7_975
; %bb.463:
	s_or_saveexec_b64 s[2:3], s[2:3]
	v_mov_b32_e32 v186, s7
	s_xor_b64 exec, exec, s[2:3]
	s_cbranch_execnz .LBB7_978
.LBB7_464:
	s_or_b64 exec, exec, s[2:3]
	s_and_saveexec_b64 s[2:3], s[0:1]
	s_cbranch_execz .LBB7_466
.LBB7_465:
	v_mov_b32_e32 v73, 7
	v_and_b32_sdwa v73, v66, v73 dst_sel:DWORD dst_unused:UNUSED_PAD src0_sel:BYTE_1 src1_sel:DWORD
	v_ffbh_u32_e32 v188, v73
	v_min_u32_e32 v188, 32, v188
	v_lshrrev_b16_e32 v187, 11, v66
	v_subrev_u32_e32 v189, 28, v188
	v_and_b32_e32 v187, 15, v187
	v_lshlrev_b32_e32 v189, v189, v73
	v_sub_u32_e32 v188, 29, v188
	v_and_b32_e32 v189, 7, v189
	v_cmp_eq_u16_e32 vcc, 0, v187
	v_lshrrev_b16_e32 v186, 15, v66
	v_cndmask_b32_e32 v73, v73, v189, vcc
	v_cndmask_b32_e32 v187, v187, v188, vcc
	v_mov_b32_e32 v188, 0x3b800000
	v_lshlrev_b32_e32 v73, 20, v73
	v_lshlrev_b32_e32 v186, 31, v186
	v_lshl_add_u32 v187, v187, 23, v188
	v_or3_b32 v186, v186, v187, v73
.LBB7_466:
	s_or_b64 exec, exec, s[2:3]
	s_movk_i32 s0, 0xff
	v_and_b32_sdwa v73, v66, s0 dst_sel:DWORD dst_unused:UNUSED_PAD src0_sel:WORD_1 src1_sel:DWORD
	s_movk_i32 s0, 0x7f
	v_cmp_lt_i16_e32 vcc, s0, v73
	s_mov_b64 s[0:1], 0
                                        ; implicit-def: $sgpr7
	s_and_saveexec_b64 s[2:3], vcc
	s_xor_b64 s[2:3], exec, s[2:3]
	s_cbranch_execnz .LBB7_979
; %bb.467:
	s_or_saveexec_b64 s[2:3], s[2:3]
	v_mov_b32_e32 v187, s7
	s_xor_b64 exec, exec, s[2:3]
	s_cbranch_execnz .LBB7_982
.LBB7_468:
	s_or_b64 exec, exec, s[2:3]
	s_and_saveexec_b64 s[2:3], s[0:1]
	s_cbranch_execz .LBB7_470
.LBB7_469:
	v_mov_b32_e32 v73, 7
	v_and_b32_sdwa v187, v66, v73 dst_sel:DWORD dst_unused:UNUSED_PAD src0_sel:WORD_1 src1_sel:DWORD
	v_ffbh_u32_e32 v189, v187
	v_mov_b32_e32 v188, 3
	v_min_u32_e32 v189, 32, v189
	v_lshrrev_b16_sdwa v188, v188, v66 dst_sel:DWORD dst_unused:UNUSED_PAD src0_sel:DWORD src1_sel:WORD_1
	v_subrev_u32_e32 v190, 28, v189
	v_and_b32_e32 v188, 15, v188
	v_lshlrev_b32_e32 v190, v190, v187
	v_sub_u32_e32 v189, 29, v189
	v_and_b32_e32 v190, 7, v190
	v_cmp_eq_u16_e32 vcc, 0, v188
	v_lshrrev_b16_sdwa v73, v73, v66 dst_sel:DWORD dst_unused:UNUSED_PAD src0_sel:DWORD src1_sel:WORD_1
	v_cndmask_b32_e32 v187, v187, v190, vcc
	v_cndmask_b32_e32 v188, v188, v189, vcc
	v_mov_b32_e32 v189, 0x3b800000
	v_lshlrev_b32_e32 v187, 20, v187
	v_lshlrev_b32_e32 v73, 31, v73
	v_lshl_add_u32 v188, v188, 23, v189
	v_or3_b32 v187, v73, v188, v187
.LBB7_470:
	s_or_b64 exec, exec, s[2:3]
	v_mov_b32_e32 v73, 8
	v_lshrrev_b16_sdwa v73, v73, v66 dst_sel:DWORD dst_unused:UNUSED_PAD src0_sel:DWORD src1_sel:WORD_1
	s_movk_i32 s0, 0x7f
	v_cmp_lt_i16_e32 vcc, s0, v73
	s_mov_b64 s[0:1], 0
                                        ; implicit-def: $sgpr7
	s_and_saveexec_b64 s[2:3], vcc
	s_xor_b64 s[2:3], exec, s[2:3]
	s_cbranch_execnz .LBB7_983
; %bb.471:
	s_or_saveexec_b64 s[2:3], s[2:3]
	v_mov_b32_e32 v188, s7
	s_xor_b64 exec, exec, s[2:3]
	s_cbranch_execnz .LBB7_986
.LBB7_472:
	s_or_b64 exec, exec, s[2:3]
	s_and_saveexec_b64 s[2:3], s[0:1]
	s_cbranch_execz .LBB7_474
.LBB7_473:
	v_mov_b32_e32 v73, 8
	v_lshrrev_b16_sdwa v73, v73, v66 dst_sel:DWORD dst_unused:UNUSED_PAD src0_sel:DWORD src1_sel:WORD_1
	v_and_b32_e32 v73, 7, v73
	v_mov_b32_e32 v188, 15
	v_mov_b32_e32 v189, 11
	v_lshrrev_b16_sdwa v188, v188, v66 dst_sel:DWORD dst_unused:UNUSED_PAD src0_sel:DWORD src1_sel:WORD_1
	v_lshrrev_b16_sdwa v66, v189, v66 dst_sel:DWORD dst_unused:UNUSED_PAD src0_sel:DWORD src1_sel:WORD_1
	v_ffbh_u32_e32 v189, v73
	v_min_u32_e32 v189, 32, v189
	v_subrev_u32_e32 v190, 28, v189
	v_and_b32_e32 v66, 15, v66
	v_lshlrev_b32_e32 v190, v190, v73
	v_sub_u32_e32 v189, 29, v189
	v_and_b32_e32 v190, 7, v190
	v_cmp_eq_u16_e32 vcc, 0, v66
	v_cndmask_b32_e32 v73, v73, v190, vcc
	v_cndmask_b32_e32 v66, v66, v189, vcc
	v_mov_b32_e32 v189, 0x3b800000
	v_lshlrev_b32_e32 v73, 20, v73
	v_lshlrev_b32_e32 v188, 31, v188
	v_lshl_add_u32 v66, v66, 23, v189
	v_or3_b32 v188, v188, v66, v73
.LBB7_474:
	s_or_b64 exec, exec, s[2:3]
	s_movk_i32 s0, 0x7f
	v_cmp_gt_i16_sdwa s[2:3], v67, s0 src0_sel:BYTE_0 src1_sel:DWORD
	s_mov_b64 s[0:1], 0
                                        ; implicit-def: $sgpr7
	s_and_saveexec_b64 s[4:5], s[2:3]
	s_xor_b64 s[2:3], exec, s[4:5]
	s_cbranch_execnz .LBB7_987
; %bb.475:
	s_or_saveexec_b64 s[2:3], s[2:3]
	v_mov_b32_e32 v189, s7
	s_xor_b64 exec, exec, s[2:3]
	s_cbranch_execnz .LBB7_990
.LBB7_476:
	s_or_b64 exec, exec, s[2:3]
	s_and_saveexec_b64 s[2:3], s[0:1]
	s_cbranch_execz .LBB7_478
.LBB7_477:
	v_and_b32_e32 v66, 7, v67
	v_ffbh_u32_e32 v190, v66
	v_min_u32_e32 v190, 32, v190
	v_lshrrev_b16_e32 v189, 3, v67
	v_subrev_u32_e32 v191, 28, v190
	v_and_b32_e32 v189, 15, v189
	v_lshlrev_b32_e32 v191, v191, v66
	v_sub_u32_e32 v190, 29, v190
	v_and_b32_e32 v191, 7, v191
	v_cmp_eq_u16_e32 vcc, 0, v189
	v_lshrrev_b16_e32 v73, 7, v67
	v_cndmask_b32_e32 v66, v66, v191, vcc
	v_cndmask_b32_e32 v189, v189, v190, vcc
	v_mov_b32_e32 v190, 0x3b800000
	v_lshlrev_b32_e32 v66, 20, v66
	v_lshlrev_b32_e32 v73, 31, v73
	v_lshl_add_u32 v189, v189, 23, v190
	v_or3_b32 v189, v73, v189, v66
.LBB7_478:
	s_or_b64 exec, exec, s[2:3]
	s_movk_i32 s0, 0x7f
	v_cmp_gt_i16_sdwa s[2:3], v67, s0 src0_sel:BYTE_1 src1_sel:DWORD
	s_mov_b64 s[0:1], 0
                                        ; implicit-def: $sgpr7
	s_and_saveexec_b64 s[4:5], s[2:3]
	s_xor_b64 s[2:3], exec, s[4:5]
	s_cbranch_execnz .LBB7_991
; %bb.479:
	s_or_saveexec_b64 s[2:3], s[2:3]
	v_mov_b32_e32 v190, s7
	s_xor_b64 exec, exec, s[2:3]
	s_cbranch_execnz .LBB7_994
.LBB7_480:
	s_or_b64 exec, exec, s[2:3]
	s_and_saveexec_b64 s[2:3], s[0:1]
	s_cbranch_execz .LBB7_482
.LBB7_481:
	v_mov_b32_e32 v66, 7
	v_and_b32_sdwa v66, v67, v66 dst_sel:DWORD dst_unused:UNUSED_PAD src0_sel:BYTE_1 src1_sel:DWORD
	v_ffbh_u32_e32 v191, v66
	v_min_u32_e32 v191, 32, v191
	v_lshrrev_b16_e32 v190, 11, v67
	v_subrev_u32_e32 v192, 28, v191
	v_and_b32_e32 v190, 15, v190
	v_lshlrev_b32_e32 v192, v192, v66
	v_sub_u32_e32 v191, 29, v191
	v_and_b32_e32 v192, 7, v192
	v_cmp_eq_u16_e32 vcc, 0, v190
	v_lshrrev_b16_e32 v73, 15, v67
	v_cndmask_b32_e32 v66, v66, v192, vcc
	v_cndmask_b32_e32 v190, v190, v191, vcc
	v_mov_b32_e32 v191, 0x3b800000
	v_lshlrev_b32_e32 v66, 20, v66
	v_lshlrev_b32_e32 v73, 31, v73
	v_lshl_add_u32 v190, v190, 23, v191
	v_or3_b32 v190, v73, v190, v66
.LBB7_482:
	s_or_b64 exec, exec, s[2:3]
	s_movk_i32 s0, 0xff
	v_and_b32_sdwa v66, v67, s0 dst_sel:DWORD dst_unused:UNUSED_PAD src0_sel:WORD_1 src1_sel:DWORD
	s_movk_i32 s0, 0x7f
	v_cmp_lt_i16_e32 vcc, s0, v66
	s_mov_b64 s[0:1], 0
                                        ; implicit-def: $sgpr7
	s_and_saveexec_b64 s[2:3], vcc
	s_xor_b64 s[2:3], exec, s[2:3]
	s_cbranch_execnz .LBB7_995
; %bb.483:
	s_or_saveexec_b64 s[2:3], s[2:3]
	v_mov_b32_e32 v191, s7
	s_xor_b64 exec, exec, s[2:3]
	s_cbranch_execnz .LBB7_998
.LBB7_484:
	s_or_b64 exec, exec, s[2:3]
	s_and_saveexec_b64 s[2:3], s[0:1]
	s_cbranch_execz .LBB7_486
.LBB7_485:
	v_mov_b32_e32 v66, 7
	v_and_b32_sdwa v73, v67, v66 dst_sel:DWORD dst_unused:UNUSED_PAD src0_sel:WORD_1 src1_sel:DWORD
	v_ffbh_u32_e32 v192, v73
	v_mov_b32_e32 v191, 3
	v_min_u32_e32 v192, 32, v192
	v_lshrrev_b16_sdwa v191, v191, v67 dst_sel:DWORD dst_unused:UNUSED_PAD src0_sel:DWORD src1_sel:WORD_1
	v_subrev_u32_e32 v193, 28, v192
	v_and_b32_e32 v191, 15, v191
	v_lshlrev_b32_e32 v193, v193, v73
	v_sub_u32_e32 v192, 29, v192
	v_and_b32_e32 v193, 7, v193
	v_cmp_eq_u16_e32 vcc, 0, v191
	v_lshrrev_b16_sdwa v66, v66, v67 dst_sel:DWORD dst_unused:UNUSED_PAD src0_sel:DWORD src1_sel:WORD_1
	v_cndmask_b32_e32 v73, v73, v193, vcc
	v_cndmask_b32_e32 v191, v191, v192, vcc
	v_mov_b32_e32 v192, 0x3b800000
	v_lshlrev_b32_e32 v73, 20, v73
	v_lshlrev_b32_e32 v66, 31, v66
	v_lshl_add_u32 v191, v191, 23, v192
	v_or3_b32 v191, v66, v191, v73
.LBB7_486:
	s_or_b64 exec, exec, s[2:3]
	v_mov_b32_e32 v66, 8
	v_lshrrev_b16_sdwa v66, v66, v67 dst_sel:DWORD dst_unused:UNUSED_PAD src0_sel:DWORD src1_sel:WORD_1
	s_movk_i32 s0, 0x7f
	v_cmp_lt_i16_e32 vcc, s0, v66
	s_mov_b64 s[0:1], 0
                                        ; implicit-def: $sgpr7
	s_and_saveexec_b64 s[2:3], vcc
	s_xor_b64 s[2:3], exec, s[2:3]
	s_cbranch_execnz .LBB7_999
; %bb.487:
	s_or_saveexec_b64 s[2:3], s[2:3]
	v_mov_b32_e32 v192, s7
	s_xor_b64 exec, exec, s[2:3]
	s_cbranch_execnz .LBB7_1002
.LBB7_488:
	s_or_b64 exec, exec, s[2:3]
	s_and_saveexec_b64 s[2:3], s[0:1]
	s_cbranch_execz .LBB7_490
.LBB7_489:
	v_mov_b32_e32 v66, 8
	v_lshrrev_b16_sdwa v66, v66, v67 dst_sel:DWORD dst_unused:UNUSED_PAD src0_sel:DWORD src1_sel:WORD_1
	v_and_b32_e32 v66, 7, v66
	v_mov_b32_e32 v73, 15
	v_mov_b32_e32 v192, 11
	v_lshrrev_b16_sdwa v73, v73, v67 dst_sel:DWORD dst_unused:UNUSED_PAD src0_sel:DWORD src1_sel:WORD_1
	v_lshrrev_b16_sdwa v67, v192, v67 dst_sel:DWORD dst_unused:UNUSED_PAD src0_sel:DWORD src1_sel:WORD_1
	v_ffbh_u32_e32 v192, v66
	v_min_u32_e32 v192, 32, v192
	v_subrev_u32_e32 v193, 28, v192
	v_and_b32_e32 v67, 15, v67
	v_lshlrev_b32_e32 v193, v193, v66
	v_sub_u32_e32 v192, 29, v192
	v_and_b32_e32 v193, 7, v193
	v_cmp_eq_u16_e32 vcc, 0, v67
	v_cndmask_b32_e32 v66, v66, v193, vcc
	v_cndmask_b32_e32 v67, v67, v192, vcc
	v_mov_b32_e32 v192, 0x3b800000
	v_lshlrev_b32_e32 v66, 20, v66
	v_lshlrev_b32_e32 v73, 31, v73
	v_lshl_add_u32 v67, v67, 23, v192
	v_or3_b32 v192, v73, v67, v66
.LBB7_490:
	s_or_b64 exec, exec, s[2:3]
	s_movk_i32 s0, 0x7f
	v_cmp_gt_i16_sdwa s[2:3], v68, s0 src0_sel:BYTE_0 src1_sel:DWORD
	s_mov_b64 s[0:1], 0
                                        ; implicit-def: $sgpr7
	s_and_saveexec_b64 s[4:5], s[2:3]
	s_xor_b64 s[2:3], exec, s[4:5]
	s_cbranch_execnz .LBB7_1003
; %bb.491:
	s_or_saveexec_b64 s[2:3], s[2:3]
	v_mov_b32_e32 v193, s7
	s_xor_b64 exec, exec, s[2:3]
	s_cbranch_execnz .LBB7_1006
.LBB7_492:
	s_or_b64 exec, exec, s[2:3]
	s_and_saveexec_b64 s[2:3], s[0:1]
	s_cbranch_execz .LBB7_494
.LBB7_493:
	v_and_b32_e32 v66, 7, v68
	v_ffbh_u32_e32 v193, v66
	v_min_u32_e32 v193, 32, v193
	v_lshrrev_b16_e32 v73, 3, v68
	v_subrev_u32_e32 v194, 28, v193
	v_and_b32_e32 v73, 15, v73
	v_lshlrev_b32_e32 v194, v194, v66
	v_sub_u32_e32 v193, 29, v193
	v_and_b32_e32 v194, 7, v194
	v_cmp_eq_u16_e32 vcc, 0, v73
	v_lshrrev_b16_e32 v67, 7, v68
	v_cndmask_b32_e32 v66, v66, v194, vcc
	v_cndmask_b32_e32 v73, v73, v193, vcc
	v_mov_b32_e32 v193, 0x3b800000
	v_lshlrev_b32_e32 v66, 20, v66
	v_lshlrev_b32_e32 v67, 31, v67
	v_lshl_add_u32 v73, v73, 23, v193
	v_or3_b32 v193, v67, v73, v66
.LBB7_494:
	s_or_b64 exec, exec, s[2:3]
	s_movk_i32 s0, 0x7f
	v_cmp_gt_i16_sdwa s[2:3], v68, s0 src0_sel:BYTE_1 src1_sel:DWORD
	s_mov_b64 s[0:1], 0
                                        ; implicit-def: $sgpr7
	s_and_saveexec_b64 s[4:5], s[2:3]
	s_xor_b64 s[2:3], exec, s[4:5]
	s_cbranch_execnz .LBB7_1007
; %bb.495:
	s_or_saveexec_b64 s[2:3], s[2:3]
	v_mov_b32_e32 v194, s7
	s_xor_b64 exec, exec, s[2:3]
	s_cbranch_execnz .LBB7_1010
.LBB7_496:
	s_or_b64 exec, exec, s[2:3]
	s_and_saveexec_b64 s[2:3], s[0:1]
	s_cbranch_execz .LBB7_498
.LBB7_497:
	v_mov_b32_e32 v66, 7
	v_and_b32_sdwa v66, v68, v66 dst_sel:DWORD dst_unused:UNUSED_PAD src0_sel:BYTE_1 src1_sel:DWORD
	v_ffbh_u32_e32 v194, v66
	v_min_u32_e32 v194, 32, v194
	v_lshrrev_b16_e32 v73, 11, v68
	v_subrev_u32_e32 v195, 28, v194
	v_and_b32_e32 v73, 15, v73
	v_lshlrev_b32_e32 v195, v195, v66
	v_sub_u32_e32 v194, 29, v194
	v_and_b32_e32 v195, 7, v195
	v_cmp_eq_u16_e32 vcc, 0, v73
	v_lshrrev_b16_e32 v67, 15, v68
	v_cndmask_b32_e32 v66, v66, v195, vcc
	v_cndmask_b32_e32 v73, v73, v194, vcc
	v_mov_b32_e32 v194, 0x3b800000
	v_lshlrev_b32_e32 v66, 20, v66
	v_lshlrev_b32_e32 v67, 31, v67
	v_lshl_add_u32 v73, v73, 23, v194
	v_or3_b32 v194, v67, v73, v66
.LBB7_498:
	s_or_b64 exec, exec, s[2:3]
	s_movk_i32 s0, 0xff
	v_and_b32_sdwa v66, v68, s0 dst_sel:DWORD dst_unused:UNUSED_PAD src0_sel:WORD_1 src1_sel:DWORD
	s_movk_i32 s0, 0x7f
	v_cmp_lt_i16_e32 vcc, s0, v66
	s_mov_b64 s[0:1], 0
                                        ; implicit-def: $sgpr7
	s_and_saveexec_b64 s[2:3], vcc
	s_xor_b64 s[2:3], exec, s[2:3]
	s_cbranch_execnz .LBB7_1011
; %bb.499:
	s_or_saveexec_b64 s[2:3], s[2:3]
	v_mov_b32_e32 v195, s7
	s_xor_b64 exec, exec, s[2:3]
	s_cbranch_execnz .LBB7_1014
.LBB7_500:
	s_or_b64 exec, exec, s[2:3]
	s_and_saveexec_b64 s[2:3], s[0:1]
	s_cbranch_execz .LBB7_502
.LBB7_501:
	v_mov_b32_e32 v66, 7
	v_and_b32_sdwa v67, v68, v66 dst_sel:DWORD dst_unused:UNUSED_PAD src0_sel:WORD_1 src1_sel:DWORD
	v_ffbh_u32_e32 v195, v67
	v_mov_b32_e32 v73, 3
	v_min_u32_e32 v195, 32, v195
	v_lshrrev_b16_sdwa v73, v73, v68 dst_sel:DWORD dst_unused:UNUSED_PAD src0_sel:DWORD src1_sel:WORD_1
	v_subrev_u32_e32 v196, 28, v195
	v_and_b32_e32 v73, 15, v73
	v_lshlrev_b32_e32 v196, v196, v67
	v_sub_u32_e32 v195, 29, v195
	v_and_b32_e32 v196, 7, v196
	v_cmp_eq_u16_e32 vcc, 0, v73
	v_lshrrev_b16_sdwa v66, v66, v68 dst_sel:DWORD dst_unused:UNUSED_PAD src0_sel:DWORD src1_sel:WORD_1
	v_cndmask_b32_e32 v67, v67, v196, vcc
	v_cndmask_b32_e32 v73, v73, v195, vcc
	v_mov_b32_e32 v195, 0x3b800000
	v_lshlrev_b32_e32 v67, 20, v67
	v_lshlrev_b32_e32 v66, 31, v66
	v_lshl_add_u32 v73, v73, 23, v195
	v_or3_b32 v195, v66, v73, v67
.LBB7_502:
	s_or_b64 exec, exec, s[2:3]
	v_mov_b32_e32 v66, 8
	v_lshrrev_b16_sdwa v66, v66, v68 dst_sel:DWORD dst_unused:UNUSED_PAD src0_sel:DWORD src1_sel:WORD_1
	s_movk_i32 s0, 0x7f
	v_cmp_lt_i16_e32 vcc, s0, v66
	s_mov_b64 s[0:1], 0
                                        ; implicit-def: $sgpr7
	s_and_saveexec_b64 s[2:3], vcc
	s_xor_b64 s[2:3], exec, s[2:3]
	s_cbranch_execnz .LBB7_1015
; %bb.503:
	s_or_saveexec_b64 s[2:3], s[2:3]
	v_mov_b32_e32 v196, s7
	s_xor_b64 exec, exec, s[2:3]
	s_cbranch_execnz .LBB7_1018
.LBB7_504:
	s_or_b64 exec, exec, s[2:3]
	s_and_saveexec_b64 s[2:3], s[0:1]
	s_cbranch_execz .LBB7_506
.LBB7_505:
	v_mov_b32_e32 v66, 8
	v_lshrrev_b16_sdwa v66, v66, v68 dst_sel:DWORD dst_unused:UNUSED_PAD src0_sel:DWORD src1_sel:WORD_1
	v_and_b32_e32 v66, 7, v66
	v_mov_b32_e32 v67, 15
	v_mov_b32_e32 v73, 11
	v_lshrrev_b16_sdwa v67, v67, v68 dst_sel:DWORD dst_unused:UNUSED_PAD src0_sel:DWORD src1_sel:WORD_1
	v_lshrrev_b16_sdwa v68, v73, v68 dst_sel:DWORD dst_unused:UNUSED_PAD src0_sel:DWORD src1_sel:WORD_1
	v_ffbh_u32_e32 v73, v66
	v_min_u32_e32 v73, 32, v73
	v_subrev_u32_e32 v196, 28, v73
	v_and_b32_e32 v68, 15, v68
	v_lshlrev_b32_e32 v196, v196, v66
	v_sub_u32_e32 v73, 29, v73
	v_and_b32_e32 v196, 7, v196
	v_cmp_eq_u16_e32 vcc, 0, v68
	v_cndmask_b32_e32 v66, v66, v196, vcc
	v_cndmask_b32_e32 v68, v68, v73, vcc
	v_mov_b32_e32 v73, 0x3b800000
	v_lshlrev_b32_e32 v66, 20, v66
	v_lshlrev_b32_e32 v67, 31, v67
	v_lshl_add_u32 v68, v68, 23, v73
	v_or3_b32 v196, v67, v68, v66
.LBB7_506:
	s_or_b64 exec, exec, s[2:3]
	s_movk_i32 s0, 0x7f
	v_cmp_gt_i16_sdwa s[2:3], v69, s0 src0_sel:BYTE_0 src1_sel:DWORD
	s_mov_b64 s[0:1], 0
                                        ; implicit-def: $sgpr7
	s_and_saveexec_b64 s[4:5], s[2:3]
	s_xor_b64 s[2:3], exec, s[4:5]
	s_cbranch_execnz .LBB7_1019
; %bb.507:
	s_or_saveexec_b64 s[2:3], s[2:3]
	v_mov_b32_e32 v197, s7
	s_xor_b64 exec, exec, s[2:3]
	s_cbranch_execnz .LBB7_1022
.LBB7_508:
	s_or_b64 exec, exec, s[2:3]
	s_and_saveexec_b64 s[2:3], s[0:1]
	s_cbranch_execz .LBB7_510
.LBB7_509:
	v_and_b32_e32 v66, 7, v69
	v_ffbh_u32_e32 v73, v66
	v_min_u32_e32 v73, 32, v73
	v_lshrrev_b16_e32 v68, 3, v69
	v_subrev_u32_e32 v197, 28, v73
	v_and_b32_e32 v68, 15, v68
	v_lshlrev_b32_e32 v197, v197, v66
	v_sub_u32_e32 v73, 29, v73
	v_and_b32_e32 v197, 7, v197
	v_cmp_eq_u16_e32 vcc, 0, v68
	v_lshrrev_b16_e32 v67, 7, v69
	v_cndmask_b32_e32 v66, v66, v197, vcc
	v_cndmask_b32_e32 v68, v68, v73, vcc
	v_mov_b32_e32 v73, 0x3b800000
	v_lshlrev_b32_e32 v66, 20, v66
	v_lshlrev_b32_e32 v67, 31, v67
	v_lshl_add_u32 v68, v68, 23, v73
	v_or3_b32 v197, v67, v68, v66
.LBB7_510:
	s_or_b64 exec, exec, s[2:3]
	s_movk_i32 s0, 0x7f
	v_cmp_gt_i16_sdwa s[2:3], v69, s0 src0_sel:BYTE_1 src1_sel:DWORD
	s_mov_b64 s[0:1], 0
                                        ; implicit-def: $sgpr7
	s_and_saveexec_b64 s[4:5], s[2:3]
	s_xor_b64 s[2:3], exec, s[4:5]
	s_cbranch_execnz .LBB7_1023
; %bb.511:
	s_or_saveexec_b64 s[2:3], s[2:3]
	v_mov_b32_e32 v198, s7
	s_xor_b64 exec, exec, s[2:3]
	s_cbranch_execnz .LBB7_1026
.LBB7_512:
	s_or_b64 exec, exec, s[2:3]
	s_and_saveexec_b64 s[2:3], s[0:1]
	s_cbranch_execz .LBB7_514
.LBB7_513:
	v_mov_b32_e32 v66, 7
	v_and_b32_sdwa v66, v69, v66 dst_sel:DWORD dst_unused:UNUSED_PAD src0_sel:BYTE_1 src1_sel:DWORD
	v_ffbh_u32_e32 v73, v66
	v_min_u32_e32 v73, 32, v73
	v_lshrrev_b16_e32 v68, 11, v69
	v_subrev_u32_e32 v198, 28, v73
	v_and_b32_e32 v68, 15, v68
	v_lshlrev_b32_e32 v198, v198, v66
	v_sub_u32_e32 v73, 29, v73
	v_and_b32_e32 v198, 7, v198
	v_cmp_eq_u16_e32 vcc, 0, v68
	v_lshrrev_b16_e32 v67, 15, v69
	v_cndmask_b32_e32 v66, v66, v198, vcc
	v_cndmask_b32_e32 v68, v68, v73, vcc
	v_mov_b32_e32 v73, 0x3b800000
	v_lshlrev_b32_e32 v66, 20, v66
	v_lshlrev_b32_e32 v67, 31, v67
	v_lshl_add_u32 v68, v68, 23, v73
	v_or3_b32 v198, v67, v68, v66
.LBB7_514:
	s_or_b64 exec, exec, s[2:3]
	s_movk_i32 s0, 0xff
	v_and_b32_sdwa v66, v69, s0 dst_sel:DWORD dst_unused:UNUSED_PAD src0_sel:WORD_1 src1_sel:DWORD
	s_movk_i32 s0, 0x7f
	v_cmp_lt_i16_e32 vcc, s0, v66
	s_mov_b64 s[0:1], 0
                                        ; implicit-def: $sgpr7
	s_and_saveexec_b64 s[2:3], vcc
	s_xor_b64 s[2:3], exec, s[2:3]
	s_cbranch_execnz .LBB7_1027
; %bb.515:
	s_or_saveexec_b64 s[2:3], s[2:3]
	v_mov_b32_e32 v199, s7
	s_xor_b64 exec, exec, s[2:3]
	s_cbranch_execnz .LBB7_1030
.LBB7_516:
	s_or_b64 exec, exec, s[2:3]
	s_and_saveexec_b64 s[2:3], s[0:1]
	s_cbranch_execz .LBB7_518
.LBB7_517:
	v_mov_b32_e32 v66, 7
	v_and_b32_sdwa v67, v69, v66 dst_sel:DWORD dst_unused:UNUSED_PAD src0_sel:WORD_1 src1_sel:DWORD
	v_ffbh_u32_e32 v73, v67
	v_mov_b32_e32 v68, 3
	v_min_u32_e32 v73, 32, v73
	v_lshrrev_b16_sdwa v68, v68, v69 dst_sel:DWORD dst_unused:UNUSED_PAD src0_sel:DWORD src1_sel:WORD_1
	v_subrev_u32_e32 v199, 28, v73
	v_and_b32_e32 v68, 15, v68
	v_lshlrev_b32_e32 v199, v199, v67
	v_sub_u32_e32 v73, 29, v73
	v_and_b32_e32 v199, 7, v199
	v_cmp_eq_u16_e32 vcc, 0, v68
	v_lshrrev_b16_sdwa v66, v66, v69 dst_sel:DWORD dst_unused:UNUSED_PAD src0_sel:DWORD src1_sel:WORD_1
	v_cndmask_b32_e32 v67, v67, v199, vcc
	v_cndmask_b32_e32 v68, v68, v73, vcc
	v_mov_b32_e32 v73, 0x3b800000
	v_lshlrev_b32_e32 v67, 20, v67
	v_lshlrev_b32_e32 v66, 31, v66
	v_lshl_add_u32 v68, v68, 23, v73
	v_or3_b32 v199, v66, v68, v67
.LBB7_518:
	s_or_b64 exec, exec, s[2:3]
	v_mov_b32_e32 v66, 8
	v_lshrrev_b16_sdwa v66, v66, v69 dst_sel:DWORD dst_unused:UNUSED_PAD src0_sel:DWORD src1_sel:WORD_1
	s_movk_i32 s0, 0x7f
	v_cmp_lt_i16_e32 vcc, s0, v66
	s_mov_b64 s[0:1], 0
                                        ; implicit-def: $sgpr7
	s_and_saveexec_b64 s[2:3], vcc
	s_xor_b64 s[2:3], exec, s[2:3]
	s_cbranch_execnz .LBB7_1031
; %bb.519:
	s_or_saveexec_b64 s[2:3], s[2:3]
	v_mov_b32_e32 v200, s7
	s_xor_b64 exec, exec, s[2:3]
	s_cbranch_execnz .LBB7_1034
.LBB7_520:
	s_or_b64 exec, exec, s[2:3]
	s_and_saveexec_b64 s[2:3], s[0:1]
	s_cbranch_execz .LBB7_522
.LBB7_521:
	v_mov_b32_e32 v66, 8
	v_lshrrev_b16_sdwa v66, v66, v69 dst_sel:DWORD dst_unused:UNUSED_PAD src0_sel:DWORD src1_sel:WORD_1
	v_and_b32_e32 v66, 7, v66
	v_mov_b32_e32 v67, 15
	v_mov_b32_e32 v68, 11
	v_lshrrev_b16_sdwa v67, v67, v69 dst_sel:DWORD dst_unused:UNUSED_PAD src0_sel:DWORD src1_sel:WORD_1
	v_lshrrev_b16_sdwa v68, v68, v69 dst_sel:DWORD dst_unused:UNUSED_PAD src0_sel:DWORD src1_sel:WORD_1
	v_ffbh_u32_e32 v69, v66
	v_min_u32_e32 v69, 32, v69
	v_subrev_u32_e32 v73, 28, v69
	v_and_b32_e32 v68, 15, v68
	v_lshlrev_b32_e32 v73, v73, v66
	v_sub_u32_e32 v69, 29, v69
	v_and_b32_e32 v73, 7, v73
	v_cmp_eq_u16_e32 vcc, 0, v68
	v_cndmask_b32_e32 v66, v66, v73, vcc
	v_cndmask_b32_e32 v68, v68, v69, vcc
	v_mov_b32_e32 v69, 0x3b800000
	v_lshlrev_b32_e32 v66, 20, v66
	v_lshlrev_b32_e32 v67, 31, v67
	v_lshl_add_u32 v68, v68, 23, v69
	v_or3_b32 v200, v67, v68, v66
.LBB7_522:
	s_or_b64 exec, exec, s[2:3]
	s_ashr_i32 s23, s22, 31
	s_lshl_b64 s[0:1], s[22:23], 1
	s_add_u32 s4, s20, s0
	s_mul_i32 s25, s25, s13
	s_mul_hi_u32 s2, s24, s13
	s_addc_u32 s5, s21, s1
	s_add_i32 s2, s2, s25
	v_cvt_pkrtz_f16_f32 v83, v83, v184
	v_cvt_pkrtz_f16_f32 v82, v72, v82
	;; [unrolled: 1-line block ×64, first 2 shown]
	; sched_barrier mask(0x00000000)
	; wave barrier
	; sched_barrier mask(0x00000000)
	v_mfma_f32_16x16x16f16 v[86:89], v[54:55], v[102:103], 0
	v_mfma_f32_16x16x16f16 v[86:89], v[56:57], v[94:95], v[86:89]
	;; [unrolled: 1-line block ×4, first 2 shown]
	; sched_barrier mask(0x00000000)
	s_setprio 1
	; sched_barrier mask(0x00000000)
	v_mfma_f32_16x16x16f16 v[90:93], v[54:55], v[154:155], 0
	v_mfma_f32_16x16x16f16 v[54:57], v[56:57], v[156:157], v[90:93]
	v_mfma_f32_16x16x16f16 v[54:57], v[50:51], v[160:161], v[54:57]
	v_mfma_f32_16x16x16f16 v[50:53], v[52:53], v[162:163], v[54:57]
	s_waitcnt lgkmcnt(7)
	v_mfma_f32_16x16x16f16 v[54:57], v[62:63], v[102:103], 0
	v_mfma_f32_16x16x16f16 v[90:93], v[62:63], v[154:155], 0
	v_mfma_f32_16x16x16f16 v[54:57], v[64:65], v[94:95], v[54:57]
	v_mfma_f32_16x16x16f16 v[62:65], v[64:65], v[156:157], v[90:93]
	s_waitcnt lgkmcnt(6)
	v_mfma_f32_16x16x16f16 v[54:57], v[58:59], v[108:109], v[54:57]
	v_mfma_f32_16x16x16f16 v[62:65], v[58:59], v[160:161], v[62:65]
	v_mfma_f32_16x16x16f16 v[54:57], v[60:61], v[96:97], v[54:57]
	v_mfma_f32_16x16x16f16 v[58:61], v[60:61], v[162:163], v[62:65]
	v_mfma_f32_16x16x16f16 v[62:65], v[38:39], v[114:115], v[86:89]
	v_mfma_f32_16x16x16f16 v[50:53], v[38:39], v[166:167], v[50:53]
	v_mfma_f32_16x16x16f16 v[62:65], v[40:41], v[116:117], v[62:65]
	v_mfma_f32_16x16x16f16 v[38:41], v[40:41], v[168:169], v[50:53]
	v_mfma_f32_16x16x16f16 v[62:65], v[34:35], v[120:121], v[62:65]
	v_mfma_f32_16x16x16f16 v[38:41], v[34:35], v[172:173], v[38:41]
	v_mfma_f32_16x16x16f16 v[62:65], v[36:37], v[122:123], v[62:65]
	v_mfma_f32_16x16x16f16 v[34:37], v[36:37], v[174:175], v[38:41]
	s_waitcnt lgkmcnt(5)
	v_mfma_f32_16x16x16f16 v[38:41], v[46:47], v[114:115], v[54:57]
	v_mfma_f32_16x16x16f16 v[50:53], v[46:47], v[166:167], v[58:61]
	v_mfma_f32_16x16x16f16 v[38:41], v[48:49], v[116:117], v[38:41]
	v_mfma_f32_16x16x16f16 v[46:49], v[48:49], v[168:169], v[50:53]
	s_waitcnt lgkmcnt(4)
	v_mfma_f32_16x16x16f16 v[38:41], v[42:43], v[120:121], v[38:41]
	v_mfma_f32_16x16x16f16 v[46:49], v[42:43], v[172:173], v[46:49]
	v_mfma_f32_16x16x16f16 v[38:41], v[44:45], v[122:123], v[38:41]
	v_mfma_f32_16x16x16f16 v[42:45], v[44:45], v[174:175], v[46:49]
	v_mfma_f32_16x16x16f16 v[46:49], v[22:23], v[126:127], v[62:65]
	v_mfma_f32_16x16x16f16 v[34:37], v[22:23], v[178:179], v[34:37]
	v_mfma_f32_16x16x16f16 v[46:49], v[24:25], v[128:129], v[46:49]
	v_mfma_f32_16x16x16f16 v[22:25], v[24:25], v[180:181], v[34:37]
	;; [unrolled: 18-line block ×3, first 2 shown]
	v_mfma_f32_16x16x16f16 v[30:33], v[2:3], v[68:69], v[30:33]
	v_mfma_f32_16x16x16f16 v[6:9], v[2:3], v[80:81], v[6:9]
	;; [unrolled: 1-line block ×4, first 2 shown]
	s_waitcnt lgkmcnt(1)
	v_mfma_f32_16x16x16f16 v[6:9], v[14:15], v[72:73], v[22:25]
	v_mfma_f32_16x16x16f16 v[6:9], v[16:17], v[70:71], v[6:9]
	s_waitcnt lgkmcnt(0)
	v_mfma_f32_16x16x16f16 v[6:9], v[10:11], v[68:69], v[6:9]
	v_mfma_f32_16x16x16f16 v[6:9], v[12:13], v[66:67], v[6:9]
	; sched_barrier mask(0x00000000)
	s_waitcnt lgkmcnt(0)
	; wave barrier
	; sched_barrier mask(0x00000000)
	v_mfma_f32_16x16x16f16 v[18:21], v[14:15], v[76:77], v[26:29]
	v_mfma_f32_16x16x16f16 v[14:17], v[16:17], v[78:79], v[18:21]
	;; [unrolled: 1-line block ×4, first 2 shown]
	; sched_barrier mask(0x00000000)
	s_setprio 0
	; sched_barrier mask(0x00000000)
	s_nop 7
	s_nop 0
	v_lshrrev_b32_e32 v16, 2, v0
	v_and_b32_e32 v17, 12, v98
	v_or_b32_e32 v1, v99, v1
	v_or_b32_e32 v0, s6, v17
	v_lshl_or_b32 v18, s15, 5, v16
	v_mad_u64_u32 v[14:15], s[0:1], v18, s13, v[0:1]
	v_cvt_f16_f32_e32 v15, v30
	v_lshlrev_b32_e32 v19, 1, v1
	v_cvt_f16_f32_e32 v1, v31
	v_cvt_f16_f32_e32 v20, v32
	;; [unrolled: 1-line block ×3, first 2 shown]
	s_waitcnt lgkmcnt(0)
	; wave barrier
	ds_write_b16 v19, v15
	ds_write_b16 v19, v1 offset:32
	ds_write_b16 v19, v20 offset:64
	ds_write_b16 v19, v21 offset:96
	v_lshlrev_b32_e32 v1, 1, v17
	v_lshl_or_b32 v15, v16, 5, v1
	s_waitcnt lgkmcnt(0)
	; wave barrier
	ds_read_b64 v[16:17], v15
	v_cmp_gt_i32_e32 vcc, s9, v0
	v_cmp_gt_i32_e64 s[0:1], s8, v18
	s_add_i32 s2, s9, s2
	s_lshl_b32 s6, s2, 1
	v_bfrev_b32_e32 v20, 1
	s_and_b64 s[2:3], s[0:1], vcc
	v_cndmask_b32_e64 v1, v20, 0, s[2:3]
	s_mov_b32 s7, 0x20000
	v_lshl_add_u32 v1, v14, 1, v1
	s_waitcnt lgkmcnt(0)
	buffer_atomic_pk_add_f16 v16, v1, s[4:7], 0 offen
	buffer_atomic_pk_add_f16 v17, v1, s[4:7], 4 offen
	v_or_b32_e32 v16, 16, v0
	v_cvt_f16_f32_e32 v0, v2
	v_cvt_f16_f32_e32 v1, v3
	;; [unrolled: 1-line block ×4, first 2 shown]
	s_waitcnt lgkmcnt(0)
	; wave barrier
	ds_write_b16 v19, v0
	ds_write_b16 v19, v1 offset:32
	ds_write_b16 v19, v2 offset:64
	;; [unrolled: 1-line block ×3, first 2 shown]
	s_waitcnt lgkmcnt(0)
	; wave barrier
	ds_read_b64 v[0:1], v15
	v_cmp_gt_i32_e64 s[2:3], s9, v16
	s_and_b64 s[0:1], s[0:1], s[2:3]
	v_add_u32_e32 v17, 16, v14
	v_cndmask_b32_e64 v2, v20, 0, s[0:1]
	v_lshl_add_u32 v2, v17, 1, v2
	s_waitcnt lgkmcnt(0)
	buffer_atomic_pk_add_f16 v0, v2, s[4:7], 0 offen
	buffer_atomic_pk_add_f16 v1, v2, s[4:7], 4 offen
	v_cvt_f16_f32_e32 v0, v10
	v_cvt_f16_f32_e32 v1, v11
	;; [unrolled: 1-line block ×4, first 2 shown]
	v_or_b32_e32 v2, 16, v18
	s_waitcnt lgkmcnt(0)
	; wave barrier
	ds_write_b16 v19, v0
	ds_write_b16 v19, v1 offset:32
	ds_write_b16 v19, v4 offset:64
	;; [unrolled: 1-line block ×3, first 2 shown]
	s_waitcnt lgkmcnt(0)
	; wave barrier
	ds_read_b64 v[0:1], v15
	v_cmp_gt_i32_e64 s[0:1], s8, v2
	s_lshl_b32 s9, s13, 4
	s_and_b64 s[2:3], s[0:1], s[2:3]
	v_add_u32_e32 v3, s9, v17
	v_cndmask_b32_e64 v2, v20, 0, s[2:3]
	v_lshl_add_u32 v2, v3, 1, v2
	s_waitcnt lgkmcnt(0)
	buffer_atomic_pk_add_f16 v0, v2, s[4:7], 0 offen
	buffer_atomic_pk_add_f16 v1, v2, s[4:7], 4 offen
	v_cvt_f16_f32_e32 v0, v6
	v_cvt_f16_f32_e32 v1, v7
	;; [unrolled: 1-line block ×4, first 2 shown]
	s_waitcnt lgkmcnt(0)
	; wave barrier
	ds_write_b16 v19, v0
	ds_write_b16 v19, v1 offset:32
	ds_write_b16 v19, v2 offset:64
	;; [unrolled: 1-line block ×3, first 2 shown]
	s_waitcnt lgkmcnt(0)
	; wave barrier
	ds_read_b64 v[0:1], v15
	s_and_b64 s[0:1], vcc, s[0:1]
	v_add_u32_e32 v2, s9, v14
	v_cndmask_b32_e64 v3, v20, 0, s[0:1]
	v_lshl_add_u32 v2, v2, 1, v3
	s_waitcnt lgkmcnt(0)
	buffer_atomic_pk_add_f16 v0, v2, s[4:7], 0 offen
	buffer_atomic_pk_add_f16 v1, v2, s[4:7], 4 offen
	s_endpgm
.LBB7_523:
	s_movk_i32 s0, 0x80
	v_cmp_eq_u16_sdwa s[10:11], v94, s0 src0_sel:BYTE_0 src1_sel:DWORD
	s_mov_b64 s[0:1], -1
                                        ; implicit-def: $sgpr7
	s_and_saveexec_b64 s[4:5], s[10:11]
; %bb.524:
	s_mov_b32 s7, 0x7f800001
	s_xor_b64 s[0:1], exec, -1
; %bb.525:
	s_or_b64 exec, exec, s[4:5]
	s_and_b64 s[0:1], s[0:1], exec
	s_or_saveexec_b64 s[2:3], s[2:3]
	v_mov_b32_e32 v100, s7
	s_xor_b64 exec, exec, s[2:3]
	s_cbranch_execz .LBB7_12
.LBB7_526:
	v_mov_b32_e32 v100, 0
	v_cmp_ne_u16_sdwa s[4:5], v94, v100 src0_sel:BYTE_0 src1_sel:DWORD
	s_andn2_b64 s[0:1], s[0:1], exec
	s_and_b64 s[4:5], s[4:5], exec
	s_or_b64 s[0:1], s[0:1], s[4:5]
	s_or_b64 exec, exec, s[2:3]
	s_and_saveexec_b64 s[2:3], s[0:1]
	s_cbranch_execnz .LBB7_13
	s_branch .LBB7_14
.LBB7_527:
	s_movk_i32 s0, 0x80
	v_cmp_eq_u16_sdwa s[10:11], v94, s0 src0_sel:BYTE_1 src1_sel:DWORD
	s_mov_b64 s[0:1], -1
                                        ; implicit-def: $sgpr7
	s_and_saveexec_b64 s[4:5], s[10:11]
; %bb.528:
	s_mov_b32 s7, 0x7f800001
	s_xor_b64 s[0:1], exec, -1
; %bb.529:
	s_or_b64 exec, exec, s[4:5]
	s_and_b64 s[0:1], s[0:1], exec
	s_or_saveexec_b64 s[2:3], s[2:3]
	v_mov_b32_e32 v101, s7
	s_xor_b64 exec, exec, s[2:3]
	s_cbranch_execz .LBB7_16
.LBB7_530:
	v_mov_b32_e32 v101, 0
	v_cmp_ne_u16_sdwa s[4:5], v94, v101 src0_sel:BYTE_1 src1_sel:DWORD
	s_andn2_b64 s[0:1], s[0:1], exec
	s_and_b64 s[4:5], s[4:5], exec
	s_or_b64 s[0:1], s[0:1], s[4:5]
	s_or_b64 exec, exec, s[2:3]
	s_and_saveexec_b64 s[2:3], s[0:1]
	s_cbranch_execnz .LBB7_17
	s_branch .LBB7_18
.LBB7_531:
	s_movk_i32 s0, 0x80
	v_cmp_eq_u16_e32 vcc, s0, v103
	s_mov_b64 s[0:1], -1
                                        ; implicit-def: $sgpr7
	s_and_saveexec_b64 s[4:5], vcc
; %bb.532:
	s_mov_b32 s7, 0x7f800001
	s_xor_b64 s[0:1], exec, -1
; %bb.533:
	s_or_b64 exec, exec, s[4:5]
	s_and_b64 s[0:1], s[0:1], exec
                                        ; implicit-def: $vgpr103
	s_or_saveexec_b64 s[2:3], s[2:3]
	v_mov_b32_e32 v102, s7
	s_xor_b64 exec, exec, s[2:3]
	s_cbranch_execz .LBB7_20
.LBB7_534:
	v_cmp_ne_u16_e32 vcc, 0, v103
	s_andn2_b64 s[0:1], s[0:1], exec
	s_and_b64 s[4:5], vcc, exec
	v_mov_b32_e32 v102, 0
	s_or_b64 s[0:1], s[0:1], s[4:5]
	s_or_b64 exec, exec, s[2:3]
	s_and_saveexec_b64 s[2:3], s[0:1]
	s_cbranch_execnz .LBB7_21
	s_branch .LBB7_22
.LBB7_535:
	s_movk_i32 s0, 0x80
	v_cmp_eq_u16_e32 vcc, s0, v104
	s_mov_b64 s[0:1], -1
                                        ; implicit-def: $sgpr7
	s_and_saveexec_b64 s[4:5], vcc
; %bb.536:
	s_mov_b32 s7, 0x7f800001
	s_xor_b64 s[0:1], exec, -1
; %bb.537:
	s_or_b64 exec, exec, s[4:5]
	s_and_b64 s[0:1], s[0:1], exec
                                        ; implicit-def: $vgpr104
	s_or_saveexec_b64 s[2:3], s[2:3]
	v_mov_b32_e32 v103, s7
	s_xor_b64 exec, exec, s[2:3]
	s_cbranch_execz .LBB7_24
.LBB7_538:
	v_cmp_ne_u16_e32 vcc, 0, v104
	s_andn2_b64 s[0:1], s[0:1], exec
	s_and_b64 s[4:5], vcc, exec
	v_mov_b32_e32 v103, 0
	s_or_b64 s[0:1], s[0:1], s[4:5]
	s_or_b64 exec, exec, s[2:3]
	s_and_saveexec_b64 s[2:3], s[0:1]
	s_cbranch_execnz .LBB7_25
	s_branch .LBB7_26
.LBB7_539:
	s_movk_i32 s0, 0x80
	v_cmp_eq_u16_sdwa s[10:11], v95, s0 src0_sel:BYTE_0 src1_sel:DWORD
	s_mov_b64 s[0:1], -1
                                        ; implicit-def: $sgpr7
	s_and_saveexec_b64 s[4:5], s[10:11]
; %bb.540:
	s_mov_b32 s7, 0x7f800001
	s_xor_b64 s[0:1], exec, -1
; %bb.541:
	s_or_b64 exec, exec, s[4:5]
	s_and_b64 s[0:1], s[0:1], exec
	s_or_saveexec_b64 s[2:3], s[2:3]
	v_mov_b32_e32 v94, s7
	s_xor_b64 exec, exec, s[2:3]
	s_cbranch_execz .LBB7_28
.LBB7_542:
	v_mov_b32_e32 v94, 0
	v_cmp_ne_u16_sdwa s[4:5], v95, v94 src0_sel:BYTE_0 src1_sel:DWORD
	s_andn2_b64 s[0:1], s[0:1], exec
	s_and_b64 s[4:5], s[4:5], exec
	s_or_b64 s[0:1], s[0:1], s[4:5]
	s_or_b64 exec, exec, s[2:3]
	s_and_saveexec_b64 s[2:3], s[0:1]
	s_cbranch_execnz .LBB7_29
	s_branch .LBB7_30
.LBB7_543:
	s_movk_i32 s0, 0x80
	v_cmp_eq_u16_sdwa s[10:11], v95, s0 src0_sel:BYTE_1 src1_sel:DWORD
	s_mov_b64 s[0:1], -1
                                        ; implicit-def: $sgpr7
	s_and_saveexec_b64 s[4:5], s[10:11]
; %bb.544:
	s_mov_b32 s7, 0x7f800001
	s_xor_b64 s[0:1], exec, -1
; %bb.545:
	s_or_b64 exec, exec, s[4:5]
	s_and_b64 s[0:1], s[0:1], exec
	s_or_saveexec_b64 s[2:3], s[2:3]
	v_mov_b32_e32 v104, s7
	s_xor_b64 exec, exec, s[2:3]
	s_cbranch_execz .LBB7_32
.LBB7_546:
	v_mov_b32_e32 v104, 0
	v_cmp_ne_u16_sdwa s[4:5], v95, v104 src0_sel:BYTE_1 src1_sel:DWORD
	s_andn2_b64 s[0:1], s[0:1], exec
	s_and_b64 s[4:5], s[4:5], exec
	s_or_b64 s[0:1], s[0:1], s[4:5]
	s_or_b64 exec, exec, s[2:3]
	s_and_saveexec_b64 s[2:3], s[0:1]
	s_cbranch_execnz .LBB7_33
	s_branch .LBB7_34
.LBB7_547:
	s_movk_i32 s0, 0x80
	v_cmp_eq_u16_e32 vcc, s0, v106
	s_mov_b64 s[0:1], -1
                                        ; implicit-def: $sgpr7
	s_and_saveexec_b64 s[4:5], vcc
; %bb.548:
	s_mov_b32 s7, 0x7f800001
	s_xor_b64 s[0:1], exec, -1
; %bb.549:
	s_or_b64 exec, exec, s[4:5]
	s_and_b64 s[0:1], s[0:1], exec
                                        ; implicit-def: $vgpr106
	s_or_saveexec_b64 s[2:3], s[2:3]
	v_mov_b32_e32 v105, s7
	s_xor_b64 exec, exec, s[2:3]
	s_cbranch_execz .LBB7_36
.LBB7_550:
	v_cmp_ne_u16_e32 vcc, 0, v106
	s_andn2_b64 s[0:1], s[0:1], exec
	s_and_b64 s[4:5], vcc, exec
	v_mov_b32_e32 v105, 0
	s_or_b64 s[0:1], s[0:1], s[4:5]
	s_or_b64 exec, exec, s[2:3]
	s_and_saveexec_b64 s[2:3], s[0:1]
	s_cbranch_execnz .LBB7_37
	s_branch .LBB7_38
.LBB7_551:
	s_movk_i32 s0, 0x80
	v_cmp_eq_u16_e32 vcc, s0, v107
	s_mov_b64 s[0:1], -1
                                        ; implicit-def: $sgpr7
	s_and_saveexec_b64 s[4:5], vcc
; %bb.552:
	s_mov_b32 s7, 0x7f800001
	s_xor_b64 s[0:1], exec, -1
; %bb.553:
	s_or_b64 exec, exec, s[4:5]
	s_and_b64 s[0:1], s[0:1], exec
                                        ; implicit-def: $vgpr107
	s_or_saveexec_b64 s[2:3], s[2:3]
	v_mov_b32_e32 v106, s7
	s_xor_b64 exec, exec, s[2:3]
	s_cbranch_execz .LBB7_40
.LBB7_554:
	v_cmp_ne_u16_e32 vcc, 0, v107
	s_andn2_b64 s[0:1], s[0:1], exec
	s_and_b64 s[4:5], vcc, exec
	v_mov_b32_e32 v106, 0
	s_or_b64 s[0:1], s[0:1], s[4:5]
	s_or_b64 exec, exec, s[2:3]
	s_and_saveexec_b64 s[2:3], s[0:1]
	s_cbranch_execnz .LBB7_41
	s_branch .LBB7_42
.LBB7_555:
	s_movk_i32 s0, 0x80
	v_cmp_eq_u16_sdwa s[10:11], v96, s0 src0_sel:BYTE_0 src1_sel:DWORD
	s_mov_b64 s[0:1], -1
                                        ; implicit-def: $sgpr7
	s_and_saveexec_b64 s[4:5], s[10:11]
; %bb.556:
	s_mov_b32 s7, 0x7f800001
	s_xor_b64 s[0:1], exec, -1
; %bb.557:
	s_or_b64 exec, exec, s[4:5]
	s_and_b64 s[0:1], s[0:1], exec
	s_or_saveexec_b64 s[2:3], s[2:3]
	v_mov_b32_e32 v95, s7
	s_xor_b64 exec, exec, s[2:3]
	s_cbranch_execz .LBB7_44
.LBB7_558:
	v_mov_b32_e32 v95, 0
	v_cmp_ne_u16_sdwa s[4:5], v96, v95 src0_sel:BYTE_0 src1_sel:DWORD
	s_andn2_b64 s[0:1], s[0:1], exec
	s_and_b64 s[4:5], s[4:5], exec
	s_or_b64 s[0:1], s[0:1], s[4:5]
	s_or_b64 exec, exec, s[2:3]
	s_and_saveexec_b64 s[2:3], s[0:1]
	s_cbranch_execnz .LBB7_45
	s_branch .LBB7_46
.LBB7_559:
	s_movk_i32 s0, 0x80
	v_cmp_eq_u16_sdwa s[10:11], v96, s0 src0_sel:BYTE_1 src1_sel:DWORD
	s_mov_b64 s[0:1], -1
                                        ; implicit-def: $sgpr7
	s_and_saveexec_b64 s[4:5], s[10:11]
; %bb.560:
	s_mov_b32 s7, 0x7f800001
	s_xor_b64 s[0:1], exec, -1
; %bb.561:
	s_or_b64 exec, exec, s[4:5]
	s_and_b64 s[0:1], s[0:1], exec
	s_or_saveexec_b64 s[2:3], s[2:3]
	v_mov_b32_e32 v107, s7
	s_xor_b64 exec, exec, s[2:3]
	s_cbranch_execz .LBB7_48
.LBB7_562:
	v_mov_b32_e32 v107, 0
	v_cmp_ne_u16_sdwa s[4:5], v96, v107 src0_sel:BYTE_1 src1_sel:DWORD
	s_andn2_b64 s[0:1], s[0:1], exec
	s_and_b64 s[4:5], s[4:5], exec
	s_or_b64 s[0:1], s[0:1], s[4:5]
	s_or_b64 exec, exec, s[2:3]
	s_and_saveexec_b64 s[2:3], s[0:1]
	s_cbranch_execnz .LBB7_49
	s_branch .LBB7_50
.LBB7_563:
	s_movk_i32 s0, 0x80
	v_cmp_eq_u16_e32 vcc, s0, v109
	s_mov_b64 s[0:1], -1
                                        ; implicit-def: $sgpr7
	s_and_saveexec_b64 s[4:5], vcc
; %bb.564:
	s_mov_b32 s7, 0x7f800001
	s_xor_b64 s[0:1], exec, -1
; %bb.565:
	s_or_b64 exec, exec, s[4:5]
	s_and_b64 s[0:1], s[0:1], exec
                                        ; implicit-def: $vgpr109
	s_or_saveexec_b64 s[2:3], s[2:3]
	v_mov_b32_e32 v108, s7
	s_xor_b64 exec, exec, s[2:3]
	s_cbranch_execz .LBB7_52
.LBB7_566:
	v_cmp_ne_u16_e32 vcc, 0, v109
	s_andn2_b64 s[0:1], s[0:1], exec
	s_and_b64 s[4:5], vcc, exec
	v_mov_b32_e32 v108, 0
	s_or_b64 s[0:1], s[0:1], s[4:5]
	s_or_b64 exec, exec, s[2:3]
	s_and_saveexec_b64 s[2:3], s[0:1]
	s_cbranch_execnz .LBB7_53
	s_branch .LBB7_54
.LBB7_567:
	s_movk_i32 s0, 0x80
	v_cmp_eq_u16_e32 vcc, s0, v110
	s_mov_b64 s[0:1], -1
                                        ; implicit-def: $sgpr7
	s_and_saveexec_b64 s[4:5], vcc
; %bb.568:
	s_mov_b32 s7, 0x7f800001
	s_xor_b64 s[0:1], exec, -1
; %bb.569:
	s_or_b64 exec, exec, s[4:5]
	s_and_b64 s[0:1], s[0:1], exec
                                        ; implicit-def: $vgpr110
	s_or_saveexec_b64 s[2:3], s[2:3]
	v_mov_b32_e32 v109, s7
	s_xor_b64 exec, exec, s[2:3]
	s_cbranch_execz .LBB7_56
.LBB7_570:
	v_cmp_ne_u16_e32 vcc, 0, v110
	s_andn2_b64 s[0:1], s[0:1], exec
	s_and_b64 s[4:5], vcc, exec
	v_mov_b32_e32 v109, 0
	s_or_b64 s[0:1], s[0:1], s[4:5]
	s_or_b64 exec, exec, s[2:3]
	s_and_saveexec_b64 s[2:3], s[0:1]
	s_cbranch_execnz .LBB7_57
	s_branch .LBB7_58
.LBB7_571:
	s_movk_i32 s0, 0x80
	v_cmp_eq_u16_sdwa s[10:11], v97, s0 src0_sel:BYTE_0 src1_sel:DWORD
	s_mov_b64 s[0:1], -1
                                        ; implicit-def: $sgpr7
	s_and_saveexec_b64 s[4:5], s[10:11]
; %bb.572:
	s_mov_b32 s7, 0x7f800001
	s_xor_b64 s[0:1], exec, -1
; %bb.573:
	s_or_b64 exec, exec, s[4:5]
	s_and_b64 s[0:1], s[0:1], exec
	s_or_saveexec_b64 s[2:3], s[2:3]
	v_mov_b32_e32 v96, s7
	s_xor_b64 exec, exec, s[2:3]
	s_cbranch_execz .LBB7_60
.LBB7_574:
	v_mov_b32_e32 v96, 0
	v_cmp_ne_u16_sdwa s[4:5], v97, v96 src0_sel:BYTE_0 src1_sel:DWORD
	s_andn2_b64 s[0:1], s[0:1], exec
	s_and_b64 s[4:5], s[4:5], exec
	s_or_b64 s[0:1], s[0:1], s[4:5]
	s_or_b64 exec, exec, s[2:3]
	s_and_saveexec_b64 s[2:3], s[0:1]
	s_cbranch_execnz .LBB7_61
	s_branch .LBB7_62
.LBB7_575:
	s_movk_i32 s0, 0x80
	v_cmp_eq_u16_sdwa s[10:11], v97, s0 src0_sel:BYTE_1 src1_sel:DWORD
	s_mov_b64 s[0:1], -1
                                        ; implicit-def: $sgpr7
	s_and_saveexec_b64 s[4:5], s[10:11]
; %bb.576:
	s_mov_b32 s7, 0x7f800001
	s_xor_b64 s[0:1], exec, -1
; %bb.577:
	s_or_b64 exec, exec, s[4:5]
	s_and_b64 s[0:1], s[0:1], exec
	s_or_saveexec_b64 s[2:3], s[2:3]
	v_mov_b32_e32 v110, s7
	s_xor_b64 exec, exec, s[2:3]
	s_cbranch_execz .LBB7_64
.LBB7_578:
	v_mov_b32_e32 v110, 0
	v_cmp_ne_u16_sdwa s[4:5], v97, v110 src0_sel:BYTE_1 src1_sel:DWORD
	s_andn2_b64 s[0:1], s[0:1], exec
	s_and_b64 s[4:5], s[4:5], exec
	s_or_b64 s[0:1], s[0:1], s[4:5]
	s_or_b64 exec, exec, s[2:3]
	s_and_saveexec_b64 s[2:3], s[0:1]
	s_cbranch_execnz .LBB7_65
	s_branch .LBB7_66
.LBB7_579:
	s_movk_i32 s0, 0x80
	v_cmp_eq_u16_e32 vcc, s0, v112
	s_mov_b64 s[0:1], -1
                                        ; implicit-def: $sgpr7
	s_and_saveexec_b64 s[4:5], vcc
; %bb.580:
	s_mov_b32 s7, 0x7f800001
	s_xor_b64 s[0:1], exec, -1
; %bb.581:
	s_or_b64 exec, exec, s[4:5]
	s_and_b64 s[0:1], s[0:1], exec
                                        ; implicit-def: $vgpr112
	s_or_saveexec_b64 s[2:3], s[2:3]
	v_mov_b32_e32 v111, s7
	s_xor_b64 exec, exec, s[2:3]
	s_cbranch_execz .LBB7_68
.LBB7_582:
	v_cmp_ne_u16_e32 vcc, 0, v112
	s_andn2_b64 s[0:1], s[0:1], exec
	s_and_b64 s[4:5], vcc, exec
	v_mov_b32_e32 v111, 0
	s_or_b64 s[0:1], s[0:1], s[4:5]
	s_or_b64 exec, exec, s[2:3]
	s_and_saveexec_b64 s[2:3], s[0:1]
	s_cbranch_execnz .LBB7_69
	s_branch .LBB7_70
.LBB7_583:
	s_movk_i32 s0, 0x80
	v_cmp_eq_u16_e32 vcc, s0, v113
	s_mov_b64 s[0:1], -1
                                        ; implicit-def: $sgpr7
	s_and_saveexec_b64 s[4:5], vcc
; %bb.584:
	s_mov_b32 s7, 0x7f800001
	s_xor_b64 s[0:1], exec, -1
; %bb.585:
	s_or_b64 exec, exec, s[4:5]
	s_and_b64 s[0:1], s[0:1], exec
                                        ; implicit-def: $vgpr113
	s_or_saveexec_b64 s[2:3], s[2:3]
	v_mov_b32_e32 v112, s7
	s_xor_b64 exec, exec, s[2:3]
	s_cbranch_execz .LBB7_72
.LBB7_586:
	v_cmp_ne_u16_e32 vcc, 0, v113
	s_andn2_b64 s[0:1], s[0:1], exec
	s_and_b64 s[4:5], vcc, exec
	v_mov_b32_e32 v112, 0
	s_or_b64 s[0:1], s[0:1], s[4:5]
	s_or_b64 exec, exec, s[2:3]
	s_and_saveexec_b64 s[2:3], s[0:1]
	s_cbranch_execnz .LBB7_73
	s_branch .LBB7_74
.LBB7_587:
	s_movk_i32 s0, 0x80
	v_cmp_eq_u16_sdwa s[10:11], v90, s0 src0_sel:BYTE_0 src1_sel:DWORD
	s_mov_b64 s[0:1], -1
                                        ; implicit-def: $sgpr7
	s_and_saveexec_b64 s[4:5], s[10:11]
; %bb.588:
	s_mov_b32 s7, 0x7f800001
	s_xor_b64 s[0:1], exec, -1
; %bb.589:
	s_or_b64 exec, exec, s[4:5]
	s_and_b64 s[0:1], s[0:1], exec
	s_or_saveexec_b64 s[2:3], s[2:3]
	v_mov_b32_e32 v97, s7
	s_xor_b64 exec, exec, s[2:3]
	s_cbranch_execz .LBB7_76
.LBB7_590:
	v_mov_b32_e32 v97, 0
	v_cmp_ne_u16_sdwa s[4:5], v90, v97 src0_sel:BYTE_0 src1_sel:DWORD
	s_andn2_b64 s[0:1], s[0:1], exec
	s_and_b64 s[4:5], s[4:5], exec
	s_or_b64 s[0:1], s[0:1], s[4:5]
	s_or_b64 exec, exec, s[2:3]
	s_and_saveexec_b64 s[2:3], s[0:1]
	s_cbranch_execnz .LBB7_77
	s_branch .LBB7_78
.LBB7_591:
	s_movk_i32 s0, 0x80
	v_cmp_eq_u16_sdwa s[10:11], v90, s0 src0_sel:BYTE_1 src1_sel:DWORD
	s_mov_b64 s[0:1], -1
                                        ; implicit-def: $sgpr7
	s_and_saveexec_b64 s[4:5], s[10:11]
; %bb.592:
	s_mov_b32 s7, 0x7f800001
	s_xor_b64 s[0:1], exec, -1
; %bb.593:
	s_or_b64 exec, exec, s[4:5]
	s_and_b64 s[0:1], s[0:1], exec
	s_or_saveexec_b64 s[2:3], s[2:3]
	v_mov_b32_e32 v113, s7
	s_xor_b64 exec, exec, s[2:3]
	s_cbranch_execz .LBB7_80
.LBB7_594:
	v_mov_b32_e32 v113, 0
	v_cmp_ne_u16_sdwa s[4:5], v90, v113 src0_sel:BYTE_1 src1_sel:DWORD
	s_andn2_b64 s[0:1], s[0:1], exec
	s_and_b64 s[4:5], s[4:5], exec
	s_or_b64 s[0:1], s[0:1], s[4:5]
	s_or_b64 exec, exec, s[2:3]
	s_and_saveexec_b64 s[2:3], s[0:1]
	s_cbranch_execnz .LBB7_81
	s_branch .LBB7_82
.LBB7_595:
	s_movk_i32 s0, 0x80
	v_cmp_eq_u16_e32 vcc, s0, v115
	s_mov_b64 s[0:1], -1
                                        ; implicit-def: $sgpr7
	s_and_saveexec_b64 s[4:5], vcc
; %bb.596:
	s_mov_b32 s7, 0x7f800001
	s_xor_b64 s[0:1], exec, -1
; %bb.597:
	s_or_b64 exec, exec, s[4:5]
	s_and_b64 s[0:1], s[0:1], exec
                                        ; implicit-def: $vgpr115
	s_or_saveexec_b64 s[2:3], s[2:3]
	v_mov_b32_e32 v114, s7
	s_xor_b64 exec, exec, s[2:3]
	s_cbranch_execz .LBB7_84
.LBB7_598:
	v_cmp_ne_u16_e32 vcc, 0, v115
	s_andn2_b64 s[0:1], s[0:1], exec
	s_and_b64 s[4:5], vcc, exec
	v_mov_b32_e32 v114, 0
	s_or_b64 s[0:1], s[0:1], s[4:5]
	s_or_b64 exec, exec, s[2:3]
	s_and_saveexec_b64 s[2:3], s[0:1]
	s_cbranch_execnz .LBB7_85
	s_branch .LBB7_86
.LBB7_599:
	s_movk_i32 s0, 0x80
	v_cmp_eq_u16_e32 vcc, s0, v116
	s_mov_b64 s[0:1], -1
                                        ; implicit-def: $sgpr7
	s_and_saveexec_b64 s[4:5], vcc
; %bb.600:
	s_mov_b32 s7, 0x7f800001
	s_xor_b64 s[0:1], exec, -1
; %bb.601:
	s_or_b64 exec, exec, s[4:5]
	s_and_b64 s[0:1], s[0:1], exec
                                        ; implicit-def: $vgpr116
	s_or_saveexec_b64 s[2:3], s[2:3]
	v_mov_b32_e32 v115, s7
	s_xor_b64 exec, exec, s[2:3]
	s_cbranch_execz .LBB7_88
.LBB7_602:
	v_cmp_ne_u16_e32 vcc, 0, v116
	s_andn2_b64 s[0:1], s[0:1], exec
	s_and_b64 s[4:5], vcc, exec
	v_mov_b32_e32 v115, 0
	s_or_b64 s[0:1], s[0:1], s[4:5]
	s_or_b64 exec, exec, s[2:3]
	s_and_saveexec_b64 s[2:3], s[0:1]
	s_cbranch_execnz .LBB7_89
	s_branch .LBB7_90
.LBB7_603:
	s_movk_i32 s0, 0x80
	v_cmp_eq_u16_sdwa s[10:11], v91, s0 src0_sel:BYTE_0 src1_sel:DWORD
	s_mov_b64 s[0:1], -1
                                        ; implicit-def: $sgpr7
	s_and_saveexec_b64 s[4:5], s[10:11]
; %bb.604:
	s_mov_b32 s7, 0x7f800001
	s_xor_b64 s[0:1], exec, -1
; %bb.605:
	s_or_b64 exec, exec, s[4:5]
	s_and_b64 s[0:1], s[0:1], exec
	s_or_saveexec_b64 s[2:3], s[2:3]
	v_mov_b32_e32 v90, s7
	s_xor_b64 exec, exec, s[2:3]
	s_cbranch_execz .LBB7_92
.LBB7_606:
	v_mov_b32_e32 v90, 0
	v_cmp_ne_u16_sdwa s[4:5], v91, v90 src0_sel:BYTE_0 src1_sel:DWORD
	s_andn2_b64 s[0:1], s[0:1], exec
	s_and_b64 s[4:5], s[4:5], exec
	s_or_b64 s[0:1], s[0:1], s[4:5]
	s_or_b64 exec, exec, s[2:3]
	s_and_saveexec_b64 s[2:3], s[0:1]
	s_cbranch_execnz .LBB7_93
	s_branch .LBB7_94
.LBB7_607:
	s_movk_i32 s0, 0x80
	v_cmp_eq_u16_sdwa s[10:11], v91, s0 src0_sel:BYTE_1 src1_sel:DWORD
	s_mov_b64 s[0:1], -1
                                        ; implicit-def: $sgpr7
	s_and_saveexec_b64 s[4:5], s[10:11]
; %bb.608:
	s_mov_b32 s7, 0x7f800001
	s_xor_b64 s[0:1], exec, -1
; %bb.609:
	s_or_b64 exec, exec, s[4:5]
	s_and_b64 s[0:1], s[0:1], exec
	s_or_saveexec_b64 s[2:3], s[2:3]
	v_mov_b32_e32 v116, s7
	s_xor_b64 exec, exec, s[2:3]
	s_cbranch_execz .LBB7_96
.LBB7_610:
	v_mov_b32_e32 v116, 0
	v_cmp_ne_u16_sdwa s[4:5], v91, v116 src0_sel:BYTE_1 src1_sel:DWORD
	s_andn2_b64 s[0:1], s[0:1], exec
	s_and_b64 s[4:5], s[4:5], exec
	s_or_b64 s[0:1], s[0:1], s[4:5]
	s_or_b64 exec, exec, s[2:3]
	s_and_saveexec_b64 s[2:3], s[0:1]
	s_cbranch_execnz .LBB7_97
	s_branch .LBB7_98
.LBB7_611:
	s_movk_i32 s0, 0x80
	v_cmp_eq_u16_e32 vcc, s0, v118
	s_mov_b64 s[0:1], -1
                                        ; implicit-def: $sgpr7
	s_and_saveexec_b64 s[4:5], vcc
; %bb.612:
	s_mov_b32 s7, 0x7f800001
	s_xor_b64 s[0:1], exec, -1
; %bb.613:
	s_or_b64 exec, exec, s[4:5]
	s_and_b64 s[0:1], s[0:1], exec
                                        ; implicit-def: $vgpr118
	s_or_saveexec_b64 s[2:3], s[2:3]
	v_mov_b32_e32 v117, s7
	s_xor_b64 exec, exec, s[2:3]
	s_cbranch_execz .LBB7_100
.LBB7_614:
	v_cmp_ne_u16_e32 vcc, 0, v118
	s_andn2_b64 s[0:1], s[0:1], exec
	s_and_b64 s[4:5], vcc, exec
	v_mov_b32_e32 v117, 0
	s_or_b64 s[0:1], s[0:1], s[4:5]
	s_or_b64 exec, exec, s[2:3]
	s_and_saveexec_b64 s[2:3], s[0:1]
	s_cbranch_execnz .LBB7_101
	s_branch .LBB7_102
.LBB7_615:
	s_movk_i32 s0, 0x80
	v_cmp_eq_u16_e32 vcc, s0, v119
	s_mov_b64 s[0:1], -1
                                        ; implicit-def: $sgpr7
	s_and_saveexec_b64 s[4:5], vcc
; %bb.616:
	s_mov_b32 s7, 0x7f800001
	s_xor_b64 s[0:1], exec, -1
; %bb.617:
	s_or_b64 exec, exec, s[4:5]
	s_and_b64 s[0:1], s[0:1], exec
                                        ; implicit-def: $vgpr119
	s_or_saveexec_b64 s[2:3], s[2:3]
	v_mov_b32_e32 v118, s7
	s_xor_b64 exec, exec, s[2:3]
	s_cbranch_execz .LBB7_104
.LBB7_618:
	v_cmp_ne_u16_e32 vcc, 0, v119
	s_andn2_b64 s[0:1], s[0:1], exec
	s_and_b64 s[4:5], vcc, exec
	v_mov_b32_e32 v118, 0
	s_or_b64 s[0:1], s[0:1], s[4:5]
	s_or_b64 exec, exec, s[2:3]
	s_and_saveexec_b64 s[2:3], s[0:1]
	s_cbranch_execnz .LBB7_105
	s_branch .LBB7_106
.LBB7_619:
	s_movk_i32 s0, 0x80
	v_cmp_eq_u16_sdwa s[10:11], v92, s0 src0_sel:BYTE_0 src1_sel:DWORD
	s_mov_b64 s[0:1], -1
                                        ; implicit-def: $sgpr7
	s_and_saveexec_b64 s[4:5], s[10:11]
; %bb.620:
	s_mov_b32 s7, 0x7f800001
	s_xor_b64 s[0:1], exec, -1
; %bb.621:
	s_or_b64 exec, exec, s[4:5]
	s_and_b64 s[0:1], s[0:1], exec
	s_or_saveexec_b64 s[2:3], s[2:3]
	v_mov_b32_e32 v91, s7
	s_xor_b64 exec, exec, s[2:3]
	s_cbranch_execz .LBB7_108
.LBB7_622:
	v_mov_b32_e32 v91, 0
	v_cmp_ne_u16_sdwa s[4:5], v92, v91 src0_sel:BYTE_0 src1_sel:DWORD
	s_andn2_b64 s[0:1], s[0:1], exec
	s_and_b64 s[4:5], s[4:5], exec
	s_or_b64 s[0:1], s[0:1], s[4:5]
	s_or_b64 exec, exec, s[2:3]
	s_and_saveexec_b64 s[2:3], s[0:1]
	s_cbranch_execnz .LBB7_109
	s_branch .LBB7_110
.LBB7_623:
	s_movk_i32 s0, 0x80
	v_cmp_eq_u16_sdwa s[10:11], v92, s0 src0_sel:BYTE_1 src1_sel:DWORD
	s_mov_b64 s[0:1], -1
                                        ; implicit-def: $sgpr7
	s_and_saveexec_b64 s[4:5], s[10:11]
; %bb.624:
	s_mov_b32 s7, 0x7f800001
	s_xor_b64 s[0:1], exec, -1
; %bb.625:
	s_or_b64 exec, exec, s[4:5]
	s_and_b64 s[0:1], s[0:1], exec
	s_or_saveexec_b64 s[2:3], s[2:3]
	v_mov_b32_e32 v119, s7
	s_xor_b64 exec, exec, s[2:3]
	s_cbranch_execz .LBB7_112
.LBB7_626:
	v_mov_b32_e32 v119, 0
	v_cmp_ne_u16_sdwa s[4:5], v92, v119 src0_sel:BYTE_1 src1_sel:DWORD
	s_andn2_b64 s[0:1], s[0:1], exec
	s_and_b64 s[4:5], s[4:5], exec
	s_or_b64 s[0:1], s[0:1], s[4:5]
	s_or_b64 exec, exec, s[2:3]
	s_and_saveexec_b64 s[2:3], s[0:1]
	s_cbranch_execnz .LBB7_113
	s_branch .LBB7_114
.LBB7_627:
	s_movk_i32 s0, 0x80
	v_cmp_eq_u16_e32 vcc, s0, v121
	s_mov_b64 s[0:1], -1
                                        ; implicit-def: $sgpr7
	s_and_saveexec_b64 s[4:5], vcc
; %bb.628:
	s_mov_b32 s7, 0x7f800001
	s_xor_b64 s[0:1], exec, -1
; %bb.629:
	s_or_b64 exec, exec, s[4:5]
	s_and_b64 s[0:1], s[0:1], exec
                                        ; implicit-def: $vgpr121
	s_or_saveexec_b64 s[2:3], s[2:3]
	v_mov_b32_e32 v120, s7
	s_xor_b64 exec, exec, s[2:3]
	s_cbranch_execz .LBB7_116
.LBB7_630:
	v_cmp_ne_u16_e32 vcc, 0, v121
	s_andn2_b64 s[0:1], s[0:1], exec
	s_and_b64 s[4:5], vcc, exec
	v_mov_b32_e32 v120, 0
	s_or_b64 s[0:1], s[0:1], s[4:5]
	s_or_b64 exec, exec, s[2:3]
	s_and_saveexec_b64 s[2:3], s[0:1]
	s_cbranch_execnz .LBB7_117
	s_branch .LBB7_118
.LBB7_631:
	s_movk_i32 s0, 0x80
	v_cmp_eq_u16_e32 vcc, s0, v122
	s_mov_b64 s[0:1], -1
                                        ; implicit-def: $sgpr7
	s_and_saveexec_b64 s[4:5], vcc
; %bb.632:
	s_mov_b32 s7, 0x7f800001
	s_xor_b64 s[0:1], exec, -1
; %bb.633:
	s_or_b64 exec, exec, s[4:5]
	s_and_b64 s[0:1], s[0:1], exec
                                        ; implicit-def: $vgpr122
	s_or_saveexec_b64 s[2:3], s[2:3]
	v_mov_b32_e32 v121, s7
	s_xor_b64 exec, exec, s[2:3]
	s_cbranch_execz .LBB7_120
.LBB7_634:
	v_cmp_ne_u16_e32 vcc, 0, v122
	s_andn2_b64 s[0:1], s[0:1], exec
	s_and_b64 s[4:5], vcc, exec
	v_mov_b32_e32 v121, 0
	s_or_b64 s[0:1], s[0:1], s[4:5]
	s_or_b64 exec, exec, s[2:3]
	s_and_saveexec_b64 s[2:3], s[0:1]
	s_cbranch_execnz .LBB7_121
	s_branch .LBB7_122
.LBB7_635:
	s_movk_i32 s0, 0x80
	v_cmp_eq_u16_sdwa s[10:11], v93, s0 src0_sel:BYTE_0 src1_sel:DWORD
	s_mov_b64 s[0:1], -1
                                        ; implicit-def: $sgpr7
	s_and_saveexec_b64 s[4:5], s[10:11]
; %bb.636:
	s_mov_b32 s7, 0x7f800001
	s_xor_b64 s[0:1], exec, -1
; %bb.637:
	s_or_b64 exec, exec, s[4:5]
	s_and_b64 s[0:1], s[0:1], exec
	s_or_saveexec_b64 s[2:3], s[2:3]
	v_mov_b32_e32 v92, s7
	s_xor_b64 exec, exec, s[2:3]
	s_cbranch_execz .LBB7_124
.LBB7_638:
	v_mov_b32_e32 v92, 0
	v_cmp_ne_u16_sdwa s[4:5], v93, v92 src0_sel:BYTE_0 src1_sel:DWORD
	s_andn2_b64 s[0:1], s[0:1], exec
	s_and_b64 s[4:5], s[4:5], exec
	s_or_b64 s[0:1], s[0:1], s[4:5]
	s_or_b64 exec, exec, s[2:3]
	s_and_saveexec_b64 s[2:3], s[0:1]
	s_cbranch_execnz .LBB7_125
	s_branch .LBB7_126
.LBB7_639:
	s_movk_i32 s0, 0x80
	v_cmp_eq_u16_sdwa s[10:11], v93, s0 src0_sel:BYTE_1 src1_sel:DWORD
	s_mov_b64 s[0:1], -1
                                        ; implicit-def: $sgpr7
	s_and_saveexec_b64 s[4:5], s[10:11]
; %bb.640:
	s_mov_b32 s7, 0x7f800001
	s_xor_b64 s[0:1], exec, -1
; %bb.641:
	s_or_b64 exec, exec, s[4:5]
	s_and_b64 s[0:1], s[0:1], exec
	s_or_saveexec_b64 s[2:3], s[2:3]
	v_mov_b32_e32 v122, s7
	s_xor_b64 exec, exec, s[2:3]
	s_cbranch_execz .LBB7_128
.LBB7_642:
	v_mov_b32_e32 v122, 0
	v_cmp_ne_u16_sdwa s[4:5], v93, v122 src0_sel:BYTE_1 src1_sel:DWORD
	s_andn2_b64 s[0:1], s[0:1], exec
	s_and_b64 s[4:5], s[4:5], exec
	s_or_b64 s[0:1], s[0:1], s[4:5]
	s_or_b64 exec, exec, s[2:3]
	s_and_saveexec_b64 s[2:3], s[0:1]
	s_cbranch_execnz .LBB7_129
	s_branch .LBB7_130
.LBB7_643:
	s_movk_i32 s0, 0x80
	v_cmp_eq_u16_e32 vcc, s0, v124
	s_mov_b64 s[0:1], -1
                                        ; implicit-def: $sgpr7
	s_and_saveexec_b64 s[4:5], vcc
; %bb.644:
	s_mov_b32 s7, 0x7f800001
	s_xor_b64 s[0:1], exec, -1
; %bb.645:
	s_or_b64 exec, exec, s[4:5]
	s_and_b64 s[0:1], s[0:1], exec
                                        ; implicit-def: $vgpr124
	s_or_saveexec_b64 s[2:3], s[2:3]
	v_mov_b32_e32 v123, s7
	s_xor_b64 exec, exec, s[2:3]
	s_cbranch_execz .LBB7_132
.LBB7_646:
	v_cmp_ne_u16_e32 vcc, 0, v124
	s_andn2_b64 s[0:1], s[0:1], exec
	s_and_b64 s[4:5], vcc, exec
	v_mov_b32_e32 v123, 0
	s_or_b64 s[0:1], s[0:1], s[4:5]
	s_or_b64 exec, exec, s[2:3]
	s_and_saveexec_b64 s[2:3], s[0:1]
	s_cbranch_execnz .LBB7_133
	s_branch .LBB7_134
.LBB7_647:
	s_movk_i32 s0, 0x80
	v_cmp_eq_u16_e32 vcc, s0, v125
	s_mov_b64 s[0:1], -1
                                        ; implicit-def: $sgpr7
	s_and_saveexec_b64 s[4:5], vcc
; %bb.648:
	s_mov_b32 s7, 0x7f800001
	s_xor_b64 s[0:1], exec, -1
; %bb.649:
	s_or_b64 exec, exec, s[4:5]
	s_and_b64 s[0:1], s[0:1], exec
                                        ; implicit-def: $vgpr125
	s_or_saveexec_b64 s[2:3], s[2:3]
	v_mov_b32_e32 v124, s7
	s_xor_b64 exec, exec, s[2:3]
	s_cbranch_execz .LBB7_136
.LBB7_650:
	v_cmp_ne_u16_e32 vcc, 0, v125
	s_andn2_b64 s[0:1], s[0:1], exec
	s_and_b64 s[4:5], vcc, exec
	v_mov_b32_e32 v124, 0
	s_or_b64 s[0:1], s[0:1], s[4:5]
	s_or_b64 exec, exec, s[2:3]
	s_and_saveexec_b64 s[2:3], s[0:1]
	s_cbranch_execnz .LBB7_137
	s_branch .LBB7_138
.LBB7_651:
	s_movk_i32 s0, 0x80
	v_cmp_eq_u16_sdwa s[10:11], v86, s0 src0_sel:BYTE_0 src1_sel:DWORD
	s_mov_b64 s[0:1], -1
                                        ; implicit-def: $sgpr7
	s_and_saveexec_b64 s[4:5], s[10:11]
; %bb.652:
	s_mov_b32 s7, 0x7f800001
	s_xor_b64 s[0:1], exec, -1
; %bb.653:
	s_or_b64 exec, exec, s[4:5]
	s_and_b64 s[0:1], s[0:1], exec
	s_or_saveexec_b64 s[2:3], s[2:3]
	v_mov_b32_e32 v93, s7
	s_xor_b64 exec, exec, s[2:3]
	s_cbranch_execz .LBB7_140
.LBB7_654:
	v_mov_b32_e32 v93, 0
	v_cmp_ne_u16_sdwa s[4:5], v86, v93 src0_sel:BYTE_0 src1_sel:DWORD
	s_andn2_b64 s[0:1], s[0:1], exec
	s_and_b64 s[4:5], s[4:5], exec
	s_or_b64 s[0:1], s[0:1], s[4:5]
	s_or_b64 exec, exec, s[2:3]
	s_and_saveexec_b64 s[2:3], s[0:1]
	s_cbranch_execnz .LBB7_141
	s_branch .LBB7_142
.LBB7_655:
	s_movk_i32 s0, 0x80
	v_cmp_eq_u16_sdwa s[10:11], v86, s0 src0_sel:BYTE_1 src1_sel:DWORD
	s_mov_b64 s[0:1], -1
                                        ; implicit-def: $sgpr7
	s_and_saveexec_b64 s[4:5], s[10:11]
; %bb.656:
	s_mov_b32 s7, 0x7f800001
	s_xor_b64 s[0:1], exec, -1
; %bb.657:
	s_or_b64 exec, exec, s[4:5]
	s_and_b64 s[0:1], s[0:1], exec
	s_or_saveexec_b64 s[2:3], s[2:3]
	v_mov_b32_e32 v125, s7
	s_xor_b64 exec, exec, s[2:3]
	s_cbranch_execz .LBB7_144
.LBB7_658:
	v_mov_b32_e32 v125, 0
	v_cmp_ne_u16_sdwa s[4:5], v86, v125 src0_sel:BYTE_1 src1_sel:DWORD
	s_andn2_b64 s[0:1], s[0:1], exec
	s_and_b64 s[4:5], s[4:5], exec
	s_or_b64 s[0:1], s[0:1], s[4:5]
	s_or_b64 exec, exec, s[2:3]
	s_and_saveexec_b64 s[2:3], s[0:1]
	s_cbranch_execnz .LBB7_145
	s_branch .LBB7_146
.LBB7_659:
	s_movk_i32 s0, 0x80
	v_cmp_eq_u16_e32 vcc, s0, v127
	s_mov_b64 s[0:1], -1
                                        ; implicit-def: $sgpr7
	s_and_saveexec_b64 s[4:5], vcc
; %bb.660:
	s_mov_b32 s7, 0x7f800001
	s_xor_b64 s[0:1], exec, -1
; %bb.661:
	s_or_b64 exec, exec, s[4:5]
	s_and_b64 s[0:1], s[0:1], exec
                                        ; implicit-def: $vgpr127
	s_or_saveexec_b64 s[2:3], s[2:3]
	v_mov_b32_e32 v126, s7
	s_xor_b64 exec, exec, s[2:3]
	s_cbranch_execz .LBB7_148
.LBB7_662:
	v_cmp_ne_u16_e32 vcc, 0, v127
	s_andn2_b64 s[0:1], s[0:1], exec
	s_and_b64 s[4:5], vcc, exec
	v_mov_b32_e32 v126, 0
	s_or_b64 s[0:1], s[0:1], s[4:5]
	s_or_b64 exec, exec, s[2:3]
	s_and_saveexec_b64 s[2:3], s[0:1]
	s_cbranch_execnz .LBB7_149
	s_branch .LBB7_150
.LBB7_663:
	s_movk_i32 s0, 0x80
	v_cmp_eq_u16_e32 vcc, s0, v128
	s_mov_b64 s[0:1], -1
                                        ; implicit-def: $sgpr7
	s_and_saveexec_b64 s[4:5], vcc
; %bb.664:
	s_mov_b32 s7, 0x7f800001
	s_xor_b64 s[0:1], exec, -1
; %bb.665:
	s_or_b64 exec, exec, s[4:5]
	s_and_b64 s[0:1], s[0:1], exec
                                        ; implicit-def: $vgpr128
	s_or_saveexec_b64 s[2:3], s[2:3]
	v_mov_b32_e32 v127, s7
	s_xor_b64 exec, exec, s[2:3]
	s_cbranch_execz .LBB7_152
.LBB7_666:
	v_cmp_ne_u16_e32 vcc, 0, v128
	s_andn2_b64 s[0:1], s[0:1], exec
	s_and_b64 s[4:5], vcc, exec
	v_mov_b32_e32 v127, 0
	s_or_b64 s[0:1], s[0:1], s[4:5]
	s_or_b64 exec, exec, s[2:3]
	s_and_saveexec_b64 s[2:3], s[0:1]
	s_cbranch_execnz .LBB7_153
	s_branch .LBB7_154
.LBB7_667:
	s_movk_i32 s0, 0x80
	v_cmp_eq_u16_sdwa s[10:11], v87, s0 src0_sel:BYTE_0 src1_sel:DWORD
	s_mov_b64 s[0:1], -1
                                        ; implicit-def: $sgpr7
	s_and_saveexec_b64 s[4:5], s[10:11]
; %bb.668:
	s_mov_b32 s7, 0x7f800001
	s_xor_b64 s[0:1], exec, -1
; %bb.669:
	s_or_b64 exec, exec, s[4:5]
	s_and_b64 s[0:1], s[0:1], exec
	s_or_saveexec_b64 s[2:3], s[2:3]
	v_mov_b32_e32 v86, s7
	s_xor_b64 exec, exec, s[2:3]
	s_cbranch_execz .LBB7_156
.LBB7_670:
	v_mov_b32_e32 v86, 0
	v_cmp_ne_u16_sdwa s[4:5], v87, v86 src0_sel:BYTE_0 src1_sel:DWORD
	s_andn2_b64 s[0:1], s[0:1], exec
	s_and_b64 s[4:5], s[4:5], exec
	s_or_b64 s[0:1], s[0:1], s[4:5]
	s_or_b64 exec, exec, s[2:3]
	s_and_saveexec_b64 s[2:3], s[0:1]
	s_cbranch_execnz .LBB7_157
	s_branch .LBB7_158
.LBB7_671:
	s_movk_i32 s0, 0x80
	v_cmp_eq_u16_sdwa s[10:11], v87, s0 src0_sel:BYTE_1 src1_sel:DWORD
	s_mov_b64 s[0:1], -1
                                        ; implicit-def: $sgpr7
	s_and_saveexec_b64 s[4:5], s[10:11]
; %bb.672:
	s_mov_b32 s7, 0x7f800001
	s_xor_b64 s[0:1], exec, -1
; %bb.673:
	s_or_b64 exec, exec, s[4:5]
	s_and_b64 s[0:1], s[0:1], exec
	s_or_saveexec_b64 s[2:3], s[2:3]
	v_mov_b32_e32 v128, s7
	s_xor_b64 exec, exec, s[2:3]
	s_cbranch_execz .LBB7_160
.LBB7_674:
	v_mov_b32_e32 v128, 0
	v_cmp_ne_u16_sdwa s[4:5], v87, v128 src0_sel:BYTE_1 src1_sel:DWORD
	s_andn2_b64 s[0:1], s[0:1], exec
	s_and_b64 s[4:5], s[4:5], exec
	s_or_b64 s[0:1], s[0:1], s[4:5]
	s_or_b64 exec, exec, s[2:3]
	s_and_saveexec_b64 s[2:3], s[0:1]
	s_cbranch_execnz .LBB7_161
	s_branch .LBB7_162
.LBB7_675:
	s_movk_i32 s0, 0x80
	v_cmp_eq_u16_e32 vcc, s0, v130
	s_mov_b64 s[0:1], -1
                                        ; implicit-def: $sgpr7
	s_and_saveexec_b64 s[4:5], vcc
; %bb.676:
	s_mov_b32 s7, 0x7f800001
	s_xor_b64 s[0:1], exec, -1
; %bb.677:
	s_or_b64 exec, exec, s[4:5]
	s_and_b64 s[0:1], s[0:1], exec
                                        ; implicit-def: $vgpr130
	s_or_saveexec_b64 s[2:3], s[2:3]
	v_mov_b32_e32 v129, s7
	s_xor_b64 exec, exec, s[2:3]
	s_cbranch_execz .LBB7_164
.LBB7_678:
	v_cmp_ne_u16_e32 vcc, 0, v130
	s_andn2_b64 s[0:1], s[0:1], exec
	s_and_b64 s[4:5], vcc, exec
	v_mov_b32_e32 v129, 0
	s_or_b64 s[0:1], s[0:1], s[4:5]
	s_or_b64 exec, exec, s[2:3]
	s_and_saveexec_b64 s[2:3], s[0:1]
	s_cbranch_execnz .LBB7_165
	s_branch .LBB7_166
.LBB7_679:
	s_movk_i32 s0, 0x80
	v_cmp_eq_u16_e32 vcc, s0, v131
	s_mov_b64 s[0:1], -1
                                        ; implicit-def: $sgpr7
	s_and_saveexec_b64 s[4:5], vcc
; %bb.680:
	s_mov_b32 s7, 0x7f800001
	s_xor_b64 s[0:1], exec, -1
; %bb.681:
	s_or_b64 exec, exec, s[4:5]
	s_and_b64 s[0:1], s[0:1], exec
                                        ; implicit-def: $vgpr131
	s_or_saveexec_b64 s[2:3], s[2:3]
	v_mov_b32_e32 v130, s7
	s_xor_b64 exec, exec, s[2:3]
	s_cbranch_execz .LBB7_168
.LBB7_682:
	v_cmp_ne_u16_e32 vcc, 0, v131
	s_andn2_b64 s[0:1], s[0:1], exec
	s_and_b64 s[4:5], vcc, exec
	v_mov_b32_e32 v130, 0
	s_or_b64 s[0:1], s[0:1], s[4:5]
	s_or_b64 exec, exec, s[2:3]
	s_and_saveexec_b64 s[2:3], s[0:1]
	s_cbranch_execnz .LBB7_169
	s_branch .LBB7_170
.LBB7_683:
	s_movk_i32 s0, 0x80
	v_cmp_eq_u16_sdwa s[10:11], v88, s0 src0_sel:BYTE_0 src1_sel:DWORD
	s_mov_b64 s[0:1], -1
                                        ; implicit-def: $sgpr7
	s_and_saveexec_b64 s[4:5], s[10:11]
; %bb.684:
	s_mov_b32 s7, 0x7f800001
	s_xor_b64 s[0:1], exec, -1
; %bb.685:
	s_or_b64 exec, exec, s[4:5]
	s_and_b64 s[0:1], s[0:1], exec
	s_or_saveexec_b64 s[2:3], s[2:3]
	v_mov_b32_e32 v87, s7
	s_xor_b64 exec, exec, s[2:3]
	s_cbranch_execz .LBB7_172
.LBB7_686:
	v_mov_b32_e32 v87, 0
	v_cmp_ne_u16_sdwa s[4:5], v88, v87 src0_sel:BYTE_0 src1_sel:DWORD
	s_andn2_b64 s[0:1], s[0:1], exec
	s_and_b64 s[4:5], s[4:5], exec
	s_or_b64 s[0:1], s[0:1], s[4:5]
	s_or_b64 exec, exec, s[2:3]
	s_and_saveexec_b64 s[2:3], s[0:1]
	s_cbranch_execnz .LBB7_173
	s_branch .LBB7_174
.LBB7_687:
	s_movk_i32 s0, 0x80
	v_cmp_eq_u16_sdwa s[10:11], v88, s0 src0_sel:BYTE_1 src1_sel:DWORD
	s_mov_b64 s[0:1], -1
                                        ; implicit-def: $sgpr7
	s_and_saveexec_b64 s[4:5], s[10:11]
; %bb.688:
	s_mov_b32 s7, 0x7f800001
	s_xor_b64 s[0:1], exec, -1
; %bb.689:
	s_or_b64 exec, exec, s[4:5]
	s_and_b64 s[0:1], s[0:1], exec
	s_or_saveexec_b64 s[2:3], s[2:3]
	v_mov_b32_e32 v131, s7
	s_xor_b64 exec, exec, s[2:3]
	s_cbranch_execz .LBB7_176
.LBB7_690:
	v_mov_b32_e32 v131, 0
	v_cmp_ne_u16_sdwa s[4:5], v88, v131 src0_sel:BYTE_1 src1_sel:DWORD
	s_andn2_b64 s[0:1], s[0:1], exec
	s_and_b64 s[4:5], s[4:5], exec
	s_or_b64 s[0:1], s[0:1], s[4:5]
	s_or_b64 exec, exec, s[2:3]
	s_and_saveexec_b64 s[2:3], s[0:1]
	s_cbranch_execnz .LBB7_177
	s_branch .LBB7_178
.LBB7_691:
	s_movk_i32 s0, 0x80
	v_cmp_eq_u16_e32 vcc, s0, v133
	s_mov_b64 s[0:1], -1
                                        ; implicit-def: $sgpr7
	s_and_saveexec_b64 s[4:5], vcc
; %bb.692:
	s_mov_b32 s7, 0x7f800001
	s_xor_b64 s[0:1], exec, -1
; %bb.693:
	s_or_b64 exec, exec, s[4:5]
	s_and_b64 s[0:1], s[0:1], exec
                                        ; implicit-def: $vgpr133
	s_or_saveexec_b64 s[2:3], s[2:3]
	v_mov_b32_e32 v132, s7
	s_xor_b64 exec, exec, s[2:3]
	s_cbranch_execz .LBB7_180
.LBB7_694:
	v_cmp_ne_u16_e32 vcc, 0, v133
	s_andn2_b64 s[0:1], s[0:1], exec
	s_and_b64 s[4:5], vcc, exec
	v_mov_b32_e32 v132, 0
	s_or_b64 s[0:1], s[0:1], s[4:5]
	s_or_b64 exec, exec, s[2:3]
	s_and_saveexec_b64 s[2:3], s[0:1]
	s_cbranch_execnz .LBB7_181
	s_branch .LBB7_182
.LBB7_695:
	s_movk_i32 s0, 0x80
	v_cmp_eq_u16_e32 vcc, s0, v134
	s_mov_b64 s[0:1], -1
                                        ; implicit-def: $sgpr7
	s_and_saveexec_b64 s[4:5], vcc
; %bb.696:
	s_mov_b32 s7, 0x7f800001
	s_xor_b64 s[0:1], exec, -1
; %bb.697:
	s_or_b64 exec, exec, s[4:5]
	s_and_b64 s[0:1], s[0:1], exec
                                        ; implicit-def: $vgpr134
	s_or_saveexec_b64 s[2:3], s[2:3]
	v_mov_b32_e32 v133, s7
	s_xor_b64 exec, exec, s[2:3]
	s_cbranch_execz .LBB7_184
.LBB7_698:
	v_cmp_ne_u16_e32 vcc, 0, v134
	s_andn2_b64 s[0:1], s[0:1], exec
	s_and_b64 s[4:5], vcc, exec
	v_mov_b32_e32 v133, 0
	s_or_b64 s[0:1], s[0:1], s[4:5]
	s_or_b64 exec, exec, s[2:3]
	s_and_saveexec_b64 s[2:3], s[0:1]
	s_cbranch_execnz .LBB7_185
	s_branch .LBB7_186
.LBB7_699:
	s_movk_i32 s0, 0x80
	v_cmp_eq_u16_sdwa s[10:11], v89, s0 src0_sel:BYTE_0 src1_sel:DWORD
	s_mov_b64 s[0:1], -1
                                        ; implicit-def: $sgpr7
	s_and_saveexec_b64 s[4:5], s[10:11]
; %bb.700:
	s_mov_b32 s7, 0x7f800001
	s_xor_b64 s[0:1], exec, -1
; %bb.701:
	s_or_b64 exec, exec, s[4:5]
	s_and_b64 s[0:1], s[0:1], exec
	s_or_saveexec_b64 s[2:3], s[2:3]
	v_mov_b32_e32 v88, s7
	s_xor_b64 exec, exec, s[2:3]
	s_cbranch_execz .LBB7_188
.LBB7_702:
	v_mov_b32_e32 v88, 0
	v_cmp_ne_u16_sdwa s[4:5], v89, v88 src0_sel:BYTE_0 src1_sel:DWORD
	s_andn2_b64 s[0:1], s[0:1], exec
	s_and_b64 s[4:5], s[4:5], exec
	s_or_b64 s[0:1], s[0:1], s[4:5]
	s_or_b64 exec, exec, s[2:3]
	s_and_saveexec_b64 s[2:3], s[0:1]
	s_cbranch_execnz .LBB7_189
	s_branch .LBB7_190
.LBB7_703:
	s_movk_i32 s0, 0x80
	v_cmp_eq_u16_sdwa s[10:11], v89, s0 src0_sel:BYTE_1 src1_sel:DWORD
	s_mov_b64 s[0:1], -1
                                        ; implicit-def: $sgpr7
	s_and_saveexec_b64 s[4:5], s[10:11]
; %bb.704:
	s_mov_b32 s7, 0x7f800001
	s_xor_b64 s[0:1], exec, -1
; %bb.705:
	s_or_b64 exec, exec, s[4:5]
	s_and_b64 s[0:1], s[0:1], exec
	s_or_saveexec_b64 s[2:3], s[2:3]
	v_mov_b32_e32 v134, s7
	s_xor_b64 exec, exec, s[2:3]
	s_cbranch_execz .LBB7_192
.LBB7_706:
	v_mov_b32_e32 v134, 0
	v_cmp_ne_u16_sdwa s[4:5], v89, v134 src0_sel:BYTE_1 src1_sel:DWORD
	s_andn2_b64 s[0:1], s[0:1], exec
	s_and_b64 s[4:5], s[4:5], exec
	s_or_b64 s[0:1], s[0:1], s[4:5]
	s_or_b64 exec, exec, s[2:3]
	s_and_saveexec_b64 s[2:3], s[0:1]
	s_cbranch_execnz .LBB7_193
	s_branch .LBB7_194
.LBB7_707:
	s_movk_i32 s0, 0x80
	v_cmp_eq_u16_e32 vcc, s0, v136
	s_mov_b64 s[0:1], -1
                                        ; implicit-def: $sgpr7
	s_and_saveexec_b64 s[4:5], vcc
; %bb.708:
	s_mov_b32 s7, 0x7f800001
	s_xor_b64 s[0:1], exec, -1
; %bb.709:
	s_or_b64 exec, exec, s[4:5]
	s_and_b64 s[0:1], s[0:1], exec
                                        ; implicit-def: $vgpr136
	s_or_saveexec_b64 s[2:3], s[2:3]
	v_mov_b32_e32 v135, s7
	s_xor_b64 exec, exec, s[2:3]
	s_cbranch_execz .LBB7_196
.LBB7_710:
	v_cmp_ne_u16_e32 vcc, 0, v136
	s_andn2_b64 s[0:1], s[0:1], exec
	s_and_b64 s[4:5], vcc, exec
	v_mov_b32_e32 v135, 0
	s_or_b64 s[0:1], s[0:1], s[4:5]
	s_or_b64 exec, exec, s[2:3]
	s_and_saveexec_b64 s[2:3], s[0:1]
	s_cbranch_execnz .LBB7_197
	s_branch .LBB7_198
.LBB7_711:
	s_movk_i32 s0, 0x80
	v_cmp_eq_u16_e32 vcc, s0, v137
	s_mov_b64 s[0:1], -1
                                        ; implicit-def: $sgpr7
	s_and_saveexec_b64 s[4:5], vcc
; %bb.712:
	s_mov_b32 s7, 0x7f800001
	s_xor_b64 s[0:1], exec, -1
; %bb.713:
	s_or_b64 exec, exec, s[4:5]
	s_and_b64 s[0:1], s[0:1], exec
                                        ; implicit-def: $vgpr137
	s_or_saveexec_b64 s[2:3], s[2:3]
	v_mov_b32_e32 v136, s7
	s_xor_b64 exec, exec, s[2:3]
	s_cbranch_execz .LBB7_200
.LBB7_714:
	v_cmp_ne_u16_e32 vcc, 0, v137
	s_andn2_b64 s[0:1], s[0:1], exec
	s_and_b64 s[4:5], vcc, exec
	v_mov_b32_e32 v136, 0
	s_or_b64 s[0:1], s[0:1], s[4:5]
	s_or_b64 exec, exec, s[2:3]
	s_and_saveexec_b64 s[2:3], s[0:1]
	s_cbranch_execnz .LBB7_201
	s_branch .LBB7_202
.LBB7_715:
	s_movk_i32 s0, 0x80
	v_cmp_eq_u16_sdwa s[10:11], v82, s0 src0_sel:BYTE_0 src1_sel:DWORD
	s_mov_b64 s[0:1], -1
                                        ; implicit-def: $sgpr7
	s_and_saveexec_b64 s[4:5], s[10:11]
; %bb.716:
	s_mov_b32 s7, 0x7f800001
	s_xor_b64 s[0:1], exec, -1
; %bb.717:
	s_or_b64 exec, exec, s[4:5]
	s_and_b64 s[0:1], s[0:1], exec
	s_or_saveexec_b64 s[2:3], s[2:3]
	v_mov_b32_e32 v89, s7
	s_xor_b64 exec, exec, s[2:3]
	s_cbranch_execz .LBB7_204
.LBB7_718:
	v_mov_b32_e32 v89, 0
	v_cmp_ne_u16_sdwa s[4:5], v82, v89 src0_sel:BYTE_0 src1_sel:DWORD
	s_andn2_b64 s[0:1], s[0:1], exec
	s_and_b64 s[4:5], s[4:5], exec
	s_or_b64 s[0:1], s[0:1], s[4:5]
	s_or_b64 exec, exec, s[2:3]
	s_and_saveexec_b64 s[2:3], s[0:1]
	s_cbranch_execnz .LBB7_205
	s_branch .LBB7_206
.LBB7_719:
	s_movk_i32 s0, 0x80
	v_cmp_eq_u16_sdwa s[10:11], v82, s0 src0_sel:BYTE_1 src1_sel:DWORD
	s_mov_b64 s[0:1], -1
                                        ; implicit-def: $sgpr7
	s_and_saveexec_b64 s[4:5], s[10:11]
; %bb.720:
	s_mov_b32 s7, 0x7f800001
	s_xor_b64 s[0:1], exec, -1
; %bb.721:
	s_or_b64 exec, exec, s[4:5]
	s_and_b64 s[0:1], s[0:1], exec
	s_or_saveexec_b64 s[2:3], s[2:3]
	v_mov_b32_e32 v137, s7
	s_xor_b64 exec, exec, s[2:3]
	s_cbranch_execz .LBB7_208
.LBB7_722:
	v_mov_b32_e32 v137, 0
	v_cmp_ne_u16_sdwa s[4:5], v82, v137 src0_sel:BYTE_1 src1_sel:DWORD
	s_andn2_b64 s[0:1], s[0:1], exec
	s_and_b64 s[4:5], s[4:5], exec
	s_or_b64 s[0:1], s[0:1], s[4:5]
	s_or_b64 exec, exec, s[2:3]
	s_and_saveexec_b64 s[2:3], s[0:1]
	s_cbranch_execnz .LBB7_209
	s_branch .LBB7_210
.LBB7_723:
	s_movk_i32 s0, 0x80
	v_cmp_eq_u16_e32 vcc, s0, v139
	s_mov_b64 s[0:1], -1
                                        ; implicit-def: $sgpr7
	s_and_saveexec_b64 s[4:5], vcc
; %bb.724:
	s_mov_b32 s7, 0x7f800001
	s_xor_b64 s[0:1], exec, -1
; %bb.725:
	s_or_b64 exec, exec, s[4:5]
	s_and_b64 s[0:1], s[0:1], exec
                                        ; implicit-def: $vgpr139
	s_or_saveexec_b64 s[2:3], s[2:3]
	v_mov_b32_e32 v138, s7
	s_xor_b64 exec, exec, s[2:3]
	s_cbranch_execz .LBB7_212
.LBB7_726:
	v_cmp_ne_u16_e32 vcc, 0, v139
	s_andn2_b64 s[0:1], s[0:1], exec
	s_and_b64 s[4:5], vcc, exec
	v_mov_b32_e32 v138, 0
	s_or_b64 s[0:1], s[0:1], s[4:5]
	s_or_b64 exec, exec, s[2:3]
	s_and_saveexec_b64 s[2:3], s[0:1]
	s_cbranch_execnz .LBB7_213
	s_branch .LBB7_214
.LBB7_727:
	s_movk_i32 s0, 0x80
	v_cmp_eq_u16_e32 vcc, s0, v140
	s_mov_b64 s[0:1], -1
                                        ; implicit-def: $sgpr7
	s_and_saveexec_b64 s[4:5], vcc
; %bb.728:
	s_mov_b32 s7, 0x7f800001
	s_xor_b64 s[0:1], exec, -1
; %bb.729:
	s_or_b64 exec, exec, s[4:5]
	s_and_b64 s[0:1], s[0:1], exec
                                        ; implicit-def: $vgpr140
	s_or_saveexec_b64 s[2:3], s[2:3]
	v_mov_b32_e32 v139, s7
	s_xor_b64 exec, exec, s[2:3]
	s_cbranch_execz .LBB7_216
.LBB7_730:
	v_cmp_ne_u16_e32 vcc, 0, v140
	s_andn2_b64 s[0:1], s[0:1], exec
	s_and_b64 s[4:5], vcc, exec
	v_mov_b32_e32 v139, 0
	s_or_b64 s[0:1], s[0:1], s[4:5]
	s_or_b64 exec, exec, s[2:3]
	s_and_saveexec_b64 s[2:3], s[0:1]
	s_cbranch_execnz .LBB7_217
	s_branch .LBB7_218
.LBB7_731:
	s_movk_i32 s0, 0x80
	v_cmp_eq_u16_sdwa s[10:11], v83, s0 src0_sel:BYTE_0 src1_sel:DWORD
	s_mov_b64 s[0:1], -1
                                        ; implicit-def: $sgpr7
	s_and_saveexec_b64 s[4:5], s[10:11]
; %bb.732:
	s_mov_b32 s7, 0x7f800001
	s_xor_b64 s[0:1], exec, -1
; %bb.733:
	s_or_b64 exec, exec, s[4:5]
	s_and_b64 s[0:1], s[0:1], exec
	s_or_saveexec_b64 s[2:3], s[2:3]
	v_mov_b32_e32 v140, s7
	s_xor_b64 exec, exec, s[2:3]
	s_cbranch_execz .LBB7_220
.LBB7_734:
	v_mov_b32_e32 v140, 0
	v_cmp_ne_u16_sdwa s[4:5], v83, v140 src0_sel:BYTE_0 src1_sel:DWORD
	s_andn2_b64 s[0:1], s[0:1], exec
	s_and_b64 s[4:5], s[4:5], exec
	s_or_b64 s[0:1], s[0:1], s[4:5]
	s_or_b64 exec, exec, s[2:3]
	s_and_saveexec_b64 s[2:3], s[0:1]
	s_cbranch_execnz .LBB7_221
	s_branch .LBB7_222
.LBB7_735:
	s_movk_i32 s0, 0x80
	v_cmp_eq_u16_sdwa s[10:11], v83, s0 src0_sel:BYTE_1 src1_sel:DWORD
	s_mov_b64 s[0:1], -1
                                        ; implicit-def: $sgpr7
	s_and_saveexec_b64 s[4:5], s[10:11]
; %bb.736:
	s_mov_b32 s7, 0x7f800001
	s_xor_b64 s[0:1], exec, -1
; %bb.737:
	s_or_b64 exec, exec, s[4:5]
	s_and_b64 s[0:1], s[0:1], exec
	s_or_saveexec_b64 s[2:3], s[2:3]
	v_mov_b32_e32 v141, s7
	s_xor_b64 exec, exec, s[2:3]
	s_cbranch_execz .LBB7_224
.LBB7_738:
	v_mov_b32_e32 v141, 0
	v_cmp_ne_u16_sdwa s[4:5], v83, v141 src0_sel:BYTE_1 src1_sel:DWORD
	s_andn2_b64 s[0:1], s[0:1], exec
	s_and_b64 s[4:5], s[4:5], exec
	s_or_b64 s[0:1], s[0:1], s[4:5]
	s_or_b64 exec, exec, s[2:3]
	s_and_saveexec_b64 s[2:3], s[0:1]
	s_cbranch_execnz .LBB7_225
	s_branch .LBB7_226
.LBB7_739:
	s_movk_i32 s0, 0x80
	v_cmp_eq_u16_e32 vcc, s0, v82
	s_mov_b64 s[0:1], -1
                                        ; implicit-def: $sgpr7
	s_and_saveexec_b64 s[4:5], vcc
; %bb.740:
	s_mov_b32 s7, 0x7f800001
	s_xor_b64 s[0:1], exec, -1
; %bb.741:
	s_or_b64 exec, exec, s[4:5]
	s_and_b64 s[0:1], s[0:1], exec
                                        ; implicit-def: $vgpr82
	s_or_saveexec_b64 s[2:3], s[2:3]
	v_mov_b32_e32 v142, s7
	s_xor_b64 exec, exec, s[2:3]
	s_cbranch_execz .LBB7_228
.LBB7_742:
	v_cmp_ne_u16_e32 vcc, 0, v82
	s_andn2_b64 s[0:1], s[0:1], exec
	s_and_b64 s[4:5], vcc, exec
	v_mov_b32_e32 v142, 0
	s_or_b64 s[0:1], s[0:1], s[4:5]
	s_or_b64 exec, exec, s[2:3]
	s_and_saveexec_b64 s[2:3], s[0:1]
	s_cbranch_execnz .LBB7_229
	s_branch .LBB7_230
.LBB7_743:
	s_movk_i32 s0, 0x80
	v_cmp_eq_u16_e32 vcc, s0, v82
	s_mov_b64 s[0:1], -1
                                        ; implicit-def: $sgpr7
	s_and_saveexec_b64 s[4:5], vcc
; %bb.744:
	s_mov_b32 s7, 0x7f800001
	s_xor_b64 s[0:1], exec, -1
; %bb.745:
	s_or_b64 exec, exec, s[4:5]
	s_and_b64 s[0:1], s[0:1], exec
                                        ; implicit-def: $vgpr82
	s_or_saveexec_b64 s[2:3], s[2:3]
	v_mov_b32_e32 v143, s7
	s_xor_b64 exec, exec, s[2:3]
	s_cbranch_execz .LBB7_232
.LBB7_746:
	v_cmp_ne_u16_e32 vcc, 0, v82
	s_andn2_b64 s[0:1], s[0:1], exec
	s_and_b64 s[4:5], vcc, exec
	v_mov_b32_e32 v143, 0
	s_or_b64 s[0:1], s[0:1], s[4:5]
	s_or_b64 exec, exec, s[2:3]
	s_and_saveexec_b64 s[2:3], s[0:1]
	s_cbranch_execnz .LBB7_233
	s_branch .LBB7_234
.LBB7_747:
	s_movk_i32 s0, 0x80
	v_cmp_eq_u16_sdwa s[10:11], v84, s0 src0_sel:BYTE_0 src1_sel:DWORD
	s_mov_b64 s[0:1], -1
                                        ; implicit-def: $sgpr7
	s_and_saveexec_b64 s[4:5], s[10:11]
; %bb.748:
	s_mov_b32 s7, 0x7f800001
	s_xor_b64 s[0:1], exec, -1
; %bb.749:
	s_or_b64 exec, exec, s[4:5]
	s_and_b64 s[0:1], s[0:1], exec
	s_or_saveexec_b64 s[2:3], s[2:3]
	v_mov_b32_e32 v144, s7
	s_xor_b64 exec, exec, s[2:3]
	s_cbranch_execz .LBB7_236
.LBB7_750:
	v_mov_b32_e32 v144, 0
	v_cmp_ne_u16_sdwa s[4:5], v84, v144 src0_sel:BYTE_0 src1_sel:DWORD
	s_andn2_b64 s[0:1], s[0:1], exec
	s_and_b64 s[4:5], s[4:5], exec
	s_or_b64 s[0:1], s[0:1], s[4:5]
	s_or_b64 exec, exec, s[2:3]
	s_and_saveexec_b64 s[2:3], s[0:1]
	s_cbranch_execnz .LBB7_237
	s_branch .LBB7_238
.LBB7_751:
	s_movk_i32 s0, 0x80
	v_cmp_eq_u16_sdwa s[10:11], v84, s0 src0_sel:BYTE_1 src1_sel:DWORD
	s_mov_b64 s[0:1], -1
                                        ; implicit-def: $sgpr7
	s_and_saveexec_b64 s[4:5], s[10:11]
; %bb.752:
	s_mov_b32 s7, 0x7f800001
	s_xor_b64 s[0:1], exec, -1
; %bb.753:
	s_or_b64 exec, exec, s[4:5]
	s_and_b64 s[0:1], s[0:1], exec
	s_or_saveexec_b64 s[2:3], s[2:3]
	v_mov_b32_e32 v145, s7
	s_xor_b64 exec, exec, s[2:3]
	s_cbranch_execz .LBB7_240
.LBB7_754:
	v_mov_b32_e32 v145, 0
	v_cmp_ne_u16_sdwa s[4:5], v84, v145 src0_sel:BYTE_1 src1_sel:DWORD
	s_andn2_b64 s[0:1], s[0:1], exec
	s_and_b64 s[4:5], s[4:5], exec
	s_or_b64 s[0:1], s[0:1], s[4:5]
	s_or_b64 exec, exec, s[2:3]
	s_and_saveexec_b64 s[2:3], s[0:1]
	s_cbranch_execnz .LBB7_241
	s_branch .LBB7_242
.LBB7_755:
	s_movk_i32 s0, 0x80
	v_cmp_eq_u16_e32 vcc, s0, v82
	s_mov_b64 s[0:1], -1
                                        ; implicit-def: $sgpr7
	s_and_saveexec_b64 s[4:5], vcc
; %bb.756:
	s_mov_b32 s7, 0x7f800001
	s_xor_b64 s[0:1], exec, -1
; %bb.757:
	s_or_b64 exec, exec, s[4:5]
	s_and_b64 s[0:1], s[0:1], exec
                                        ; implicit-def: $vgpr82
	s_or_saveexec_b64 s[2:3], s[2:3]
	v_mov_b32_e32 v146, s7
	s_xor_b64 exec, exec, s[2:3]
	s_cbranch_execz .LBB7_244
.LBB7_758:
	v_cmp_ne_u16_e32 vcc, 0, v82
	s_andn2_b64 s[0:1], s[0:1], exec
	s_and_b64 s[4:5], vcc, exec
	v_mov_b32_e32 v146, 0
	s_or_b64 s[0:1], s[0:1], s[4:5]
	s_or_b64 exec, exec, s[2:3]
	s_and_saveexec_b64 s[2:3], s[0:1]
	s_cbranch_execnz .LBB7_245
	s_branch .LBB7_246
.LBB7_759:
	s_movk_i32 s0, 0x80
	v_cmp_eq_u16_e32 vcc, s0, v82
	s_mov_b64 s[0:1], -1
                                        ; implicit-def: $sgpr7
	s_and_saveexec_b64 s[4:5], vcc
; %bb.760:
	s_mov_b32 s7, 0x7f800001
	s_xor_b64 s[0:1], exec, -1
; %bb.761:
	s_or_b64 exec, exec, s[4:5]
	s_and_b64 s[0:1], s[0:1], exec
                                        ; implicit-def: $vgpr82
	s_or_saveexec_b64 s[2:3], s[2:3]
	v_mov_b32_e32 v147, s7
	s_xor_b64 exec, exec, s[2:3]
	s_cbranch_execz .LBB7_248
.LBB7_762:
	v_cmp_ne_u16_e32 vcc, 0, v82
	s_andn2_b64 s[0:1], s[0:1], exec
	s_and_b64 s[4:5], vcc, exec
	v_mov_b32_e32 v147, 0
	s_or_b64 s[0:1], s[0:1], s[4:5]
	s_or_b64 exec, exec, s[2:3]
	s_and_saveexec_b64 s[2:3], s[0:1]
	s_cbranch_execnz .LBB7_249
	s_branch .LBB7_250
.LBB7_763:
	s_movk_i32 s0, 0x80
	v_cmp_eq_u16_sdwa s[10:11], v85, s0 src0_sel:BYTE_0 src1_sel:DWORD
	s_mov_b64 s[0:1], -1
                                        ; implicit-def: $sgpr7
	s_and_saveexec_b64 s[4:5], s[10:11]
; %bb.764:
	s_mov_b32 s7, 0x7f800001
	s_xor_b64 s[0:1], exec, -1
; %bb.765:
	s_or_b64 exec, exec, s[4:5]
	s_and_b64 s[0:1], s[0:1], exec
	s_or_saveexec_b64 s[2:3], s[2:3]
	v_mov_b32_e32 v148, s7
	s_xor_b64 exec, exec, s[2:3]
	s_cbranch_execz .LBB7_252
.LBB7_766:
	v_mov_b32_e32 v148, 0
	v_cmp_ne_u16_sdwa s[4:5], v85, v148 src0_sel:BYTE_0 src1_sel:DWORD
	s_andn2_b64 s[0:1], s[0:1], exec
	s_and_b64 s[4:5], s[4:5], exec
	s_or_b64 s[0:1], s[0:1], s[4:5]
	s_or_b64 exec, exec, s[2:3]
	s_and_saveexec_b64 s[2:3], s[0:1]
	s_cbranch_execnz .LBB7_253
	s_branch .LBB7_254
.LBB7_767:
	s_movk_i32 s0, 0x80
	v_cmp_eq_u16_sdwa s[10:11], v85, s0 src0_sel:BYTE_1 src1_sel:DWORD
	s_mov_b64 s[0:1], -1
                                        ; implicit-def: $sgpr7
	s_and_saveexec_b64 s[4:5], s[10:11]
; %bb.768:
	s_mov_b32 s7, 0x7f800001
	s_xor_b64 s[0:1], exec, -1
; %bb.769:
	s_or_b64 exec, exec, s[4:5]
	s_and_b64 s[0:1], s[0:1], exec
	s_or_saveexec_b64 s[2:3], s[2:3]
	v_mov_b32_e32 v149, s7
	s_xor_b64 exec, exec, s[2:3]
	s_cbranch_execz .LBB7_256
.LBB7_770:
	v_mov_b32_e32 v149, 0
	v_cmp_ne_u16_sdwa s[4:5], v85, v149 src0_sel:BYTE_1 src1_sel:DWORD
	s_andn2_b64 s[0:1], s[0:1], exec
	s_and_b64 s[4:5], s[4:5], exec
	s_or_b64 s[0:1], s[0:1], s[4:5]
	s_or_b64 exec, exec, s[2:3]
	s_and_saveexec_b64 s[2:3], s[0:1]
	s_cbranch_execnz .LBB7_257
	s_branch .LBB7_258
.LBB7_771:
	s_movk_i32 s0, 0x80
	v_cmp_eq_u16_e32 vcc, s0, v82
	s_mov_b64 s[0:1], -1
                                        ; implicit-def: $sgpr7
	s_and_saveexec_b64 s[4:5], vcc
; %bb.772:
	s_mov_b32 s7, 0x7f800001
	s_xor_b64 s[0:1], exec, -1
; %bb.773:
	s_or_b64 exec, exec, s[4:5]
	s_and_b64 s[0:1], s[0:1], exec
                                        ; implicit-def: $vgpr82
	s_or_saveexec_b64 s[2:3], s[2:3]
	v_mov_b32_e32 v150, s7
	s_xor_b64 exec, exec, s[2:3]
	s_cbranch_execz .LBB7_260
.LBB7_774:
	v_cmp_ne_u16_e32 vcc, 0, v82
	s_andn2_b64 s[0:1], s[0:1], exec
	s_and_b64 s[4:5], vcc, exec
	v_mov_b32_e32 v150, 0
	s_or_b64 s[0:1], s[0:1], s[4:5]
	s_or_b64 exec, exec, s[2:3]
	s_and_saveexec_b64 s[2:3], s[0:1]
	s_cbranch_execnz .LBB7_261
	s_branch .LBB7_262
.LBB7_775:
	s_movk_i32 s0, 0x80
	v_cmp_eq_u16_e32 vcc, s0, v82
	s_mov_b64 s[0:1], -1
                                        ; implicit-def: $sgpr7
	s_and_saveexec_b64 s[4:5], vcc
; %bb.776:
	s_mov_b32 s7, 0x7f800001
	s_xor_b64 s[0:1], exec, -1
; %bb.777:
	s_or_b64 exec, exec, s[4:5]
	s_and_b64 s[0:1], s[0:1], exec
                                        ; implicit-def: $vgpr82
	s_or_saveexec_b64 s[2:3], s[2:3]
	v_mov_b32_e32 v151, s7
	s_xor_b64 exec, exec, s[2:3]
	s_cbranch_execz .LBB7_264
.LBB7_778:
	v_cmp_ne_u16_e32 vcc, 0, v82
	s_andn2_b64 s[0:1], s[0:1], exec
	s_and_b64 s[4:5], vcc, exec
	v_mov_b32_e32 v151, 0
	s_or_b64 s[0:1], s[0:1], s[4:5]
	s_or_b64 exec, exec, s[2:3]
	s_and_saveexec_b64 s[2:3], s[0:1]
	s_cbranch_execnz .LBB7_265
	s_branch .LBB7_266
.LBB7_779:
	s_movk_i32 s0, 0x80
	v_cmp_eq_u16_sdwa s[10:11], v78, s0 src0_sel:BYTE_0 src1_sel:DWORD
	s_mov_b64 s[0:1], -1
                                        ; implicit-def: $sgpr7
	s_and_saveexec_b64 s[4:5], s[10:11]
; %bb.780:
	s_mov_b32 s7, 0x7f800001
	s_xor_b64 s[0:1], exec, -1
; %bb.781:
	s_or_b64 exec, exec, s[4:5]
	s_and_b64 s[0:1], s[0:1], exec
	s_or_saveexec_b64 s[2:3], s[2:3]
	v_mov_b32_e32 v152, s7
	s_xor_b64 exec, exec, s[2:3]
	s_cbranch_execz .LBB7_268
.LBB7_782:
	v_mov_b32_e32 v152, 0
	v_cmp_ne_u16_sdwa s[4:5], v78, v152 src0_sel:BYTE_0 src1_sel:DWORD
	s_andn2_b64 s[0:1], s[0:1], exec
	s_and_b64 s[4:5], s[4:5], exec
	s_or_b64 s[0:1], s[0:1], s[4:5]
	s_or_b64 exec, exec, s[2:3]
	s_and_saveexec_b64 s[2:3], s[0:1]
	s_cbranch_execnz .LBB7_269
	s_branch .LBB7_270
.LBB7_783:
	s_movk_i32 s0, 0x80
	v_cmp_eq_u16_sdwa s[10:11], v78, s0 src0_sel:BYTE_1 src1_sel:DWORD
	s_mov_b64 s[0:1], -1
                                        ; implicit-def: $sgpr7
	s_and_saveexec_b64 s[4:5], s[10:11]
; %bb.784:
	s_mov_b32 s7, 0x7f800001
	s_xor_b64 s[0:1], exec, -1
; %bb.785:
	s_or_b64 exec, exec, s[4:5]
	s_and_b64 s[0:1], s[0:1], exec
	s_or_saveexec_b64 s[2:3], s[2:3]
	v_mov_b32_e32 v153, s7
	s_xor_b64 exec, exec, s[2:3]
	s_cbranch_execz .LBB7_272
.LBB7_786:
	v_mov_b32_e32 v153, 0
	v_cmp_ne_u16_sdwa s[4:5], v78, v153 src0_sel:BYTE_1 src1_sel:DWORD
	s_andn2_b64 s[0:1], s[0:1], exec
	s_and_b64 s[4:5], s[4:5], exec
	s_or_b64 s[0:1], s[0:1], s[4:5]
	s_or_b64 exec, exec, s[2:3]
	s_and_saveexec_b64 s[2:3], s[0:1]
	s_cbranch_execnz .LBB7_273
	s_branch .LBB7_274
.LBB7_787:
	s_movk_i32 s0, 0x80
	v_cmp_eq_u16_e32 vcc, s0, v82
	s_mov_b64 s[0:1], -1
                                        ; implicit-def: $sgpr7
	s_and_saveexec_b64 s[4:5], vcc
; %bb.788:
	s_mov_b32 s7, 0x7f800001
	s_xor_b64 s[0:1], exec, -1
; %bb.789:
	s_or_b64 exec, exec, s[4:5]
	s_and_b64 s[0:1], s[0:1], exec
                                        ; implicit-def: $vgpr82
	s_or_saveexec_b64 s[2:3], s[2:3]
	v_mov_b32_e32 v154, s7
	s_xor_b64 exec, exec, s[2:3]
	s_cbranch_execz .LBB7_276
.LBB7_790:
	v_cmp_ne_u16_e32 vcc, 0, v82
	s_andn2_b64 s[0:1], s[0:1], exec
	s_and_b64 s[4:5], vcc, exec
	v_mov_b32_e32 v154, 0
	s_or_b64 s[0:1], s[0:1], s[4:5]
	s_or_b64 exec, exec, s[2:3]
	s_and_saveexec_b64 s[2:3], s[0:1]
	s_cbranch_execnz .LBB7_277
	s_branch .LBB7_278
.LBB7_791:
	s_movk_i32 s0, 0x80
	v_cmp_eq_u16_e32 vcc, s0, v82
	s_mov_b64 s[0:1], -1
                                        ; implicit-def: $sgpr7
	s_and_saveexec_b64 s[4:5], vcc
; %bb.792:
	s_mov_b32 s7, 0x7f800001
	s_xor_b64 s[0:1], exec, -1
; %bb.793:
	s_or_b64 exec, exec, s[4:5]
	s_and_b64 s[0:1], s[0:1], exec
                                        ; implicit-def: $vgpr82
	s_or_saveexec_b64 s[2:3], s[2:3]
	v_mov_b32_e32 v155, s7
	s_xor_b64 exec, exec, s[2:3]
	s_cbranch_execz .LBB7_280
.LBB7_794:
	v_cmp_ne_u16_e32 vcc, 0, v82
	s_andn2_b64 s[0:1], s[0:1], exec
	s_and_b64 s[4:5], vcc, exec
	v_mov_b32_e32 v155, 0
	s_or_b64 s[0:1], s[0:1], s[4:5]
	s_or_b64 exec, exec, s[2:3]
	s_and_saveexec_b64 s[2:3], s[0:1]
	s_cbranch_execnz .LBB7_281
	s_branch .LBB7_282
.LBB7_795:
	s_movk_i32 s0, 0x80
	v_cmp_eq_u16_sdwa s[10:11], v79, s0 src0_sel:BYTE_0 src1_sel:DWORD
	s_mov_b64 s[0:1], -1
                                        ; implicit-def: $sgpr7
	s_and_saveexec_b64 s[4:5], s[10:11]
; %bb.796:
	s_mov_b32 s7, 0x7f800001
	s_xor_b64 s[0:1], exec, -1
; %bb.797:
	s_or_b64 exec, exec, s[4:5]
	s_and_b64 s[0:1], s[0:1], exec
	s_or_saveexec_b64 s[2:3], s[2:3]
	v_mov_b32_e32 v78, s7
	s_xor_b64 exec, exec, s[2:3]
	s_cbranch_execz .LBB7_284
.LBB7_798:
	v_mov_b32_e32 v78, 0
	v_cmp_ne_u16_sdwa s[4:5], v79, v78 src0_sel:BYTE_0 src1_sel:DWORD
	s_andn2_b64 s[0:1], s[0:1], exec
	s_and_b64 s[4:5], s[4:5], exec
	s_or_b64 s[0:1], s[0:1], s[4:5]
	s_or_b64 exec, exec, s[2:3]
	s_and_saveexec_b64 s[2:3], s[0:1]
	s_cbranch_execnz .LBB7_285
	s_branch .LBB7_286
.LBB7_799:
	s_movk_i32 s0, 0x80
	v_cmp_eq_u16_sdwa s[10:11], v79, s0 src0_sel:BYTE_1 src1_sel:DWORD
	s_mov_b64 s[0:1], -1
                                        ; implicit-def: $sgpr7
	s_and_saveexec_b64 s[4:5], s[10:11]
; %bb.800:
	s_mov_b32 s7, 0x7f800001
	s_xor_b64 s[0:1], exec, -1
; %bb.801:
	s_or_b64 exec, exec, s[4:5]
	s_and_b64 s[0:1], s[0:1], exec
	s_or_saveexec_b64 s[2:3], s[2:3]
	v_mov_b32_e32 v156, s7
	s_xor_b64 exec, exec, s[2:3]
	s_cbranch_execz .LBB7_288
.LBB7_802:
	v_mov_b32_e32 v156, 0
	v_cmp_ne_u16_sdwa s[4:5], v79, v156 src0_sel:BYTE_1 src1_sel:DWORD
	s_andn2_b64 s[0:1], s[0:1], exec
	s_and_b64 s[4:5], s[4:5], exec
	s_or_b64 s[0:1], s[0:1], s[4:5]
	s_or_b64 exec, exec, s[2:3]
	s_and_saveexec_b64 s[2:3], s[0:1]
	s_cbranch_execnz .LBB7_289
	s_branch .LBB7_290
.LBB7_803:
	s_movk_i32 s0, 0x80
	v_cmp_eq_u16_e32 vcc, s0, v82
	s_mov_b64 s[0:1], -1
                                        ; implicit-def: $sgpr7
	s_and_saveexec_b64 s[4:5], vcc
; %bb.804:
	s_mov_b32 s7, 0x7f800001
	s_xor_b64 s[0:1], exec, -1
; %bb.805:
	s_or_b64 exec, exec, s[4:5]
	s_and_b64 s[0:1], s[0:1], exec
                                        ; implicit-def: $vgpr82
	s_or_saveexec_b64 s[2:3], s[2:3]
	v_mov_b32_e32 v157, s7
	s_xor_b64 exec, exec, s[2:3]
	s_cbranch_execz .LBB7_292
.LBB7_806:
	v_cmp_ne_u16_e32 vcc, 0, v82
	s_andn2_b64 s[0:1], s[0:1], exec
	s_and_b64 s[4:5], vcc, exec
	v_mov_b32_e32 v157, 0
	s_or_b64 s[0:1], s[0:1], s[4:5]
	s_or_b64 exec, exec, s[2:3]
	s_and_saveexec_b64 s[2:3], s[0:1]
	s_cbranch_execnz .LBB7_293
	s_branch .LBB7_294
.LBB7_807:
	s_movk_i32 s0, 0x80
	v_cmp_eq_u16_e32 vcc, s0, v82
	s_mov_b64 s[0:1], -1
                                        ; implicit-def: $sgpr7
	s_and_saveexec_b64 s[4:5], vcc
; %bb.808:
	s_mov_b32 s7, 0x7f800001
	s_xor_b64 s[0:1], exec, -1
; %bb.809:
	s_or_b64 exec, exec, s[4:5]
	s_and_b64 s[0:1], s[0:1], exec
                                        ; implicit-def: $vgpr82
	s_or_saveexec_b64 s[2:3], s[2:3]
	v_mov_b32_e32 v158, s7
	s_xor_b64 exec, exec, s[2:3]
	s_cbranch_execz .LBB7_296
.LBB7_810:
	v_cmp_ne_u16_e32 vcc, 0, v82
	s_andn2_b64 s[0:1], s[0:1], exec
	s_and_b64 s[4:5], vcc, exec
	v_mov_b32_e32 v158, 0
	s_or_b64 s[0:1], s[0:1], s[4:5]
	s_or_b64 exec, exec, s[2:3]
	s_and_saveexec_b64 s[2:3], s[0:1]
	s_cbranch_execnz .LBB7_297
	s_branch .LBB7_298
.LBB7_811:
	s_movk_i32 s0, 0x80
	v_cmp_eq_u16_sdwa s[10:11], v80, s0 src0_sel:BYTE_0 src1_sel:DWORD
	s_mov_b64 s[0:1], -1
                                        ; implicit-def: $sgpr7
	s_and_saveexec_b64 s[4:5], s[10:11]
; %bb.812:
	s_mov_b32 s7, 0x7f800001
	s_xor_b64 s[0:1], exec, -1
; %bb.813:
	s_or_b64 exec, exec, s[4:5]
	s_and_b64 s[0:1], s[0:1], exec
	s_or_saveexec_b64 s[2:3], s[2:3]
	v_mov_b32_e32 v79, s7
	s_xor_b64 exec, exec, s[2:3]
	s_cbranch_execz .LBB7_300
.LBB7_814:
	v_mov_b32_e32 v79, 0
	v_cmp_ne_u16_sdwa s[4:5], v80, v79 src0_sel:BYTE_0 src1_sel:DWORD
	s_andn2_b64 s[0:1], s[0:1], exec
	s_and_b64 s[4:5], s[4:5], exec
	s_or_b64 s[0:1], s[0:1], s[4:5]
	s_or_b64 exec, exec, s[2:3]
	s_and_saveexec_b64 s[2:3], s[0:1]
	s_cbranch_execnz .LBB7_301
	s_branch .LBB7_302
.LBB7_815:
	s_movk_i32 s0, 0x80
	v_cmp_eq_u16_sdwa s[10:11], v80, s0 src0_sel:BYTE_1 src1_sel:DWORD
	s_mov_b64 s[0:1], -1
                                        ; implicit-def: $sgpr7
	s_and_saveexec_b64 s[4:5], s[10:11]
; %bb.816:
	s_mov_b32 s7, 0x7f800001
	s_xor_b64 s[0:1], exec, -1
; %bb.817:
	s_or_b64 exec, exec, s[4:5]
	s_and_b64 s[0:1], s[0:1], exec
	s_or_saveexec_b64 s[2:3], s[2:3]
	v_mov_b32_e32 v159, s7
	s_xor_b64 exec, exec, s[2:3]
	s_cbranch_execz .LBB7_304
.LBB7_818:
	v_mov_b32_e32 v159, 0
	v_cmp_ne_u16_sdwa s[4:5], v80, v159 src0_sel:BYTE_1 src1_sel:DWORD
	s_andn2_b64 s[0:1], s[0:1], exec
	s_and_b64 s[4:5], s[4:5], exec
	s_or_b64 s[0:1], s[0:1], s[4:5]
	s_or_b64 exec, exec, s[2:3]
	s_and_saveexec_b64 s[2:3], s[0:1]
	s_cbranch_execnz .LBB7_305
	s_branch .LBB7_306
.LBB7_819:
	s_movk_i32 s0, 0x80
	v_cmp_eq_u16_e32 vcc, s0, v82
	s_mov_b64 s[0:1], -1
                                        ; implicit-def: $sgpr7
	s_and_saveexec_b64 s[4:5], vcc
; %bb.820:
	s_mov_b32 s7, 0x7f800001
	s_xor_b64 s[0:1], exec, -1
; %bb.821:
	s_or_b64 exec, exec, s[4:5]
	s_and_b64 s[0:1], s[0:1], exec
                                        ; implicit-def: $vgpr82
	s_or_saveexec_b64 s[2:3], s[2:3]
	v_mov_b32_e32 v160, s7
	s_xor_b64 exec, exec, s[2:3]
	s_cbranch_execz .LBB7_308
.LBB7_822:
	v_cmp_ne_u16_e32 vcc, 0, v82
	s_andn2_b64 s[0:1], s[0:1], exec
	s_and_b64 s[4:5], vcc, exec
	v_mov_b32_e32 v160, 0
	s_or_b64 s[0:1], s[0:1], s[4:5]
	s_or_b64 exec, exec, s[2:3]
	s_and_saveexec_b64 s[2:3], s[0:1]
	s_cbranch_execnz .LBB7_309
	s_branch .LBB7_310
.LBB7_823:
	s_movk_i32 s0, 0x80
	v_cmp_eq_u16_e32 vcc, s0, v82
	s_mov_b64 s[0:1], -1
                                        ; implicit-def: $sgpr7
	s_and_saveexec_b64 s[4:5], vcc
; %bb.824:
	s_mov_b32 s7, 0x7f800001
	s_xor_b64 s[0:1], exec, -1
; %bb.825:
	s_or_b64 exec, exec, s[4:5]
	s_and_b64 s[0:1], s[0:1], exec
                                        ; implicit-def: $vgpr82
	s_or_saveexec_b64 s[2:3], s[2:3]
	v_mov_b32_e32 v161, s7
	s_xor_b64 exec, exec, s[2:3]
	s_cbranch_execz .LBB7_312
.LBB7_826:
	v_cmp_ne_u16_e32 vcc, 0, v82
	s_andn2_b64 s[0:1], s[0:1], exec
	s_and_b64 s[4:5], vcc, exec
	v_mov_b32_e32 v161, 0
	s_or_b64 s[0:1], s[0:1], s[4:5]
	s_or_b64 exec, exec, s[2:3]
	s_and_saveexec_b64 s[2:3], s[0:1]
	s_cbranch_execnz .LBB7_313
	s_branch .LBB7_314
.LBB7_827:
	s_movk_i32 s0, 0x80
	v_cmp_eq_u16_sdwa s[10:11], v81, s0 src0_sel:BYTE_0 src1_sel:DWORD
	s_mov_b64 s[0:1], -1
                                        ; implicit-def: $sgpr7
	s_and_saveexec_b64 s[4:5], s[10:11]
; %bb.828:
	s_mov_b32 s7, 0x7f800001
	s_xor_b64 s[0:1], exec, -1
; %bb.829:
	s_or_b64 exec, exec, s[4:5]
	s_and_b64 s[0:1], s[0:1], exec
	s_or_saveexec_b64 s[2:3], s[2:3]
	v_mov_b32_e32 v80, s7
	s_xor_b64 exec, exec, s[2:3]
	s_cbranch_execz .LBB7_316
.LBB7_830:
	v_mov_b32_e32 v80, 0
	v_cmp_ne_u16_sdwa s[4:5], v81, v80 src0_sel:BYTE_0 src1_sel:DWORD
	s_andn2_b64 s[0:1], s[0:1], exec
	s_and_b64 s[4:5], s[4:5], exec
	s_or_b64 s[0:1], s[0:1], s[4:5]
	s_or_b64 exec, exec, s[2:3]
	s_and_saveexec_b64 s[2:3], s[0:1]
	s_cbranch_execnz .LBB7_317
	s_branch .LBB7_318
.LBB7_831:
	s_movk_i32 s0, 0x80
	v_cmp_eq_u16_sdwa s[10:11], v81, s0 src0_sel:BYTE_1 src1_sel:DWORD
	s_mov_b64 s[0:1], -1
                                        ; implicit-def: $sgpr7
	s_and_saveexec_b64 s[4:5], s[10:11]
; %bb.832:
	s_mov_b32 s7, 0x7f800001
	s_xor_b64 s[0:1], exec, -1
; %bb.833:
	s_or_b64 exec, exec, s[4:5]
	s_and_b64 s[0:1], s[0:1], exec
	s_or_saveexec_b64 s[2:3], s[2:3]
	v_mov_b32_e32 v162, s7
	s_xor_b64 exec, exec, s[2:3]
	s_cbranch_execz .LBB7_320
.LBB7_834:
	v_mov_b32_e32 v162, 0
	v_cmp_ne_u16_sdwa s[4:5], v81, v162 src0_sel:BYTE_1 src1_sel:DWORD
	s_andn2_b64 s[0:1], s[0:1], exec
	s_and_b64 s[4:5], s[4:5], exec
	s_or_b64 s[0:1], s[0:1], s[4:5]
	s_or_b64 exec, exec, s[2:3]
	s_and_saveexec_b64 s[2:3], s[0:1]
	s_cbranch_execnz .LBB7_321
	s_branch .LBB7_322
.LBB7_835:
	s_movk_i32 s0, 0x80
	v_cmp_eq_u16_e32 vcc, s0, v82
	s_mov_b64 s[0:1], -1
                                        ; implicit-def: $sgpr7
	s_and_saveexec_b64 s[4:5], vcc
; %bb.836:
	s_mov_b32 s7, 0x7f800001
	s_xor_b64 s[0:1], exec, -1
; %bb.837:
	s_or_b64 exec, exec, s[4:5]
	s_and_b64 s[0:1], s[0:1], exec
                                        ; implicit-def: $vgpr82
	s_or_saveexec_b64 s[2:3], s[2:3]
	v_mov_b32_e32 v163, s7
	s_xor_b64 exec, exec, s[2:3]
	s_cbranch_execz .LBB7_324
.LBB7_838:
	v_cmp_ne_u16_e32 vcc, 0, v82
	s_andn2_b64 s[0:1], s[0:1], exec
	s_and_b64 s[4:5], vcc, exec
	v_mov_b32_e32 v163, 0
	s_or_b64 s[0:1], s[0:1], s[4:5]
	s_or_b64 exec, exec, s[2:3]
	s_and_saveexec_b64 s[2:3], s[0:1]
	s_cbranch_execnz .LBB7_325
	s_branch .LBB7_326
.LBB7_839:
	s_movk_i32 s0, 0x80
	v_cmp_eq_u16_e32 vcc, s0, v82
	s_mov_b64 s[0:1], -1
                                        ; implicit-def: $sgpr7
	s_and_saveexec_b64 s[4:5], vcc
; %bb.840:
	s_mov_b32 s7, 0x7f800001
	s_xor_b64 s[0:1], exec, -1
; %bb.841:
	s_or_b64 exec, exec, s[4:5]
	s_and_b64 s[0:1], s[0:1], exec
                                        ; implicit-def: $vgpr82
	s_or_saveexec_b64 s[2:3], s[2:3]
	v_mov_b32_e32 v164, s7
	s_xor_b64 exec, exec, s[2:3]
	s_cbranch_execz .LBB7_328
.LBB7_842:
	v_cmp_ne_u16_e32 vcc, 0, v82
	s_andn2_b64 s[0:1], s[0:1], exec
	s_and_b64 s[4:5], vcc, exec
	v_mov_b32_e32 v164, 0
	s_or_b64 s[0:1], s[0:1], s[4:5]
	s_or_b64 exec, exec, s[2:3]
	s_and_saveexec_b64 s[2:3], s[0:1]
	s_cbranch_execnz .LBB7_329
	s_branch .LBB7_330
.LBB7_843:
	s_movk_i32 s0, 0x80
	v_cmp_eq_u16_sdwa s[10:11], v74, s0 src0_sel:BYTE_0 src1_sel:DWORD
	s_mov_b64 s[0:1], -1
                                        ; implicit-def: $sgpr7
	s_and_saveexec_b64 s[4:5], s[10:11]
; %bb.844:
	s_mov_b32 s7, 0x7f800001
	s_xor_b64 s[0:1], exec, -1
; %bb.845:
	s_or_b64 exec, exec, s[4:5]
	s_and_b64 s[0:1], s[0:1], exec
	s_or_saveexec_b64 s[2:3], s[2:3]
	v_mov_b32_e32 v81, s7
	s_xor_b64 exec, exec, s[2:3]
	s_cbranch_execz .LBB7_332
.LBB7_846:
	v_mov_b32_e32 v81, 0
	v_cmp_ne_u16_sdwa s[4:5], v74, v81 src0_sel:BYTE_0 src1_sel:DWORD
	s_andn2_b64 s[0:1], s[0:1], exec
	s_and_b64 s[4:5], s[4:5], exec
	s_or_b64 s[0:1], s[0:1], s[4:5]
	s_or_b64 exec, exec, s[2:3]
	s_and_saveexec_b64 s[2:3], s[0:1]
	s_cbranch_execnz .LBB7_333
	s_branch .LBB7_334
.LBB7_847:
	s_movk_i32 s0, 0x80
	v_cmp_eq_u16_sdwa s[10:11], v74, s0 src0_sel:BYTE_1 src1_sel:DWORD
	s_mov_b64 s[0:1], -1
                                        ; implicit-def: $sgpr7
	s_and_saveexec_b64 s[4:5], s[10:11]
; %bb.848:
	s_mov_b32 s7, 0x7f800001
	s_xor_b64 s[0:1], exec, -1
; %bb.849:
	s_or_b64 exec, exec, s[4:5]
	s_and_b64 s[0:1], s[0:1], exec
	s_or_saveexec_b64 s[2:3], s[2:3]
	v_mov_b32_e32 v165, s7
	s_xor_b64 exec, exec, s[2:3]
	s_cbranch_execz .LBB7_336
.LBB7_850:
	v_mov_b32_e32 v165, 0
	v_cmp_ne_u16_sdwa s[4:5], v74, v165 src0_sel:BYTE_1 src1_sel:DWORD
	s_andn2_b64 s[0:1], s[0:1], exec
	s_and_b64 s[4:5], s[4:5], exec
	s_or_b64 s[0:1], s[0:1], s[4:5]
	s_or_b64 exec, exec, s[2:3]
	s_and_saveexec_b64 s[2:3], s[0:1]
	s_cbranch_execnz .LBB7_337
	s_branch .LBB7_338
.LBB7_851:
	s_movk_i32 s0, 0x80
	v_cmp_eq_u16_e32 vcc, s0, v82
	s_mov_b64 s[0:1], -1
                                        ; implicit-def: $sgpr7
	s_and_saveexec_b64 s[4:5], vcc
; %bb.852:
	s_mov_b32 s7, 0x7f800001
	s_xor_b64 s[0:1], exec, -1
; %bb.853:
	s_or_b64 exec, exec, s[4:5]
	s_and_b64 s[0:1], s[0:1], exec
                                        ; implicit-def: $vgpr82
	s_or_saveexec_b64 s[2:3], s[2:3]
	v_mov_b32_e32 v166, s7
	s_xor_b64 exec, exec, s[2:3]
	s_cbranch_execz .LBB7_340
.LBB7_854:
	v_cmp_ne_u16_e32 vcc, 0, v82
	s_andn2_b64 s[0:1], s[0:1], exec
	s_and_b64 s[4:5], vcc, exec
	v_mov_b32_e32 v166, 0
	s_or_b64 s[0:1], s[0:1], s[4:5]
	s_or_b64 exec, exec, s[2:3]
	s_and_saveexec_b64 s[2:3], s[0:1]
	s_cbranch_execnz .LBB7_341
	s_branch .LBB7_342
.LBB7_855:
	s_movk_i32 s0, 0x80
	v_cmp_eq_u16_e32 vcc, s0, v82
	s_mov_b64 s[0:1], -1
                                        ; implicit-def: $sgpr7
	s_and_saveexec_b64 s[4:5], vcc
; %bb.856:
	s_mov_b32 s7, 0x7f800001
	s_xor_b64 s[0:1], exec, -1
; %bb.857:
	s_or_b64 exec, exec, s[4:5]
	s_and_b64 s[0:1], s[0:1], exec
                                        ; implicit-def: $vgpr82
	s_or_saveexec_b64 s[2:3], s[2:3]
	v_mov_b32_e32 v167, s7
	s_xor_b64 exec, exec, s[2:3]
	s_cbranch_execz .LBB7_344
.LBB7_858:
	v_cmp_ne_u16_e32 vcc, 0, v82
	s_andn2_b64 s[0:1], s[0:1], exec
	s_and_b64 s[4:5], vcc, exec
	v_mov_b32_e32 v167, 0
	s_or_b64 s[0:1], s[0:1], s[4:5]
	s_or_b64 exec, exec, s[2:3]
	s_and_saveexec_b64 s[2:3], s[0:1]
	s_cbranch_execnz .LBB7_345
	s_branch .LBB7_346
.LBB7_859:
	s_movk_i32 s0, 0x80
	v_cmp_eq_u16_sdwa s[10:11], v75, s0 src0_sel:BYTE_0 src1_sel:DWORD
	s_mov_b64 s[0:1], -1
                                        ; implicit-def: $sgpr7
	s_and_saveexec_b64 s[4:5], s[10:11]
; %bb.860:
	s_mov_b32 s7, 0x7f800001
	s_xor_b64 s[0:1], exec, -1
; %bb.861:
	s_or_b64 exec, exec, s[4:5]
	s_and_b64 s[0:1], s[0:1], exec
	s_or_saveexec_b64 s[2:3], s[2:3]
	v_mov_b32_e32 v74, s7
	s_xor_b64 exec, exec, s[2:3]
	s_cbranch_execz .LBB7_348
.LBB7_862:
	v_mov_b32_e32 v74, 0
	v_cmp_ne_u16_sdwa s[4:5], v75, v74 src0_sel:BYTE_0 src1_sel:DWORD
	s_andn2_b64 s[0:1], s[0:1], exec
	s_and_b64 s[4:5], s[4:5], exec
	s_or_b64 s[0:1], s[0:1], s[4:5]
	s_or_b64 exec, exec, s[2:3]
	s_and_saveexec_b64 s[2:3], s[0:1]
	s_cbranch_execnz .LBB7_349
	s_branch .LBB7_350
.LBB7_863:
	s_movk_i32 s0, 0x80
	v_cmp_eq_u16_sdwa s[10:11], v75, s0 src0_sel:BYTE_1 src1_sel:DWORD
	s_mov_b64 s[0:1], -1
                                        ; implicit-def: $sgpr7
	s_and_saveexec_b64 s[4:5], s[10:11]
; %bb.864:
	s_mov_b32 s7, 0x7f800001
	s_xor_b64 s[0:1], exec, -1
; %bb.865:
	s_or_b64 exec, exec, s[4:5]
	s_and_b64 s[0:1], s[0:1], exec
	s_or_saveexec_b64 s[2:3], s[2:3]
	v_mov_b32_e32 v168, s7
	s_xor_b64 exec, exec, s[2:3]
	s_cbranch_execz .LBB7_352
.LBB7_866:
	v_mov_b32_e32 v168, 0
	v_cmp_ne_u16_sdwa s[4:5], v75, v168 src0_sel:BYTE_1 src1_sel:DWORD
	s_andn2_b64 s[0:1], s[0:1], exec
	s_and_b64 s[4:5], s[4:5], exec
	s_or_b64 s[0:1], s[0:1], s[4:5]
	s_or_b64 exec, exec, s[2:3]
	s_and_saveexec_b64 s[2:3], s[0:1]
	s_cbranch_execnz .LBB7_353
	s_branch .LBB7_354
.LBB7_867:
	s_movk_i32 s0, 0x80
	v_cmp_eq_u16_e32 vcc, s0, v82
	s_mov_b64 s[0:1], -1
                                        ; implicit-def: $sgpr7
	s_and_saveexec_b64 s[4:5], vcc
; %bb.868:
	s_mov_b32 s7, 0x7f800001
	s_xor_b64 s[0:1], exec, -1
; %bb.869:
	s_or_b64 exec, exec, s[4:5]
	s_and_b64 s[0:1], s[0:1], exec
                                        ; implicit-def: $vgpr82
	s_or_saveexec_b64 s[2:3], s[2:3]
	v_mov_b32_e32 v169, s7
	s_xor_b64 exec, exec, s[2:3]
	s_cbranch_execz .LBB7_356
.LBB7_870:
	v_cmp_ne_u16_e32 vcc, 0, v82
	s_andn2_b64 s[0:1], s[0:1], exec
	s_and_b64 s[4:5], vcc, exec
	v_mov_b32_e32 v169, 0
	s_or_b64 s[0:1], s[0:1], s[4:5]
	s_or_b64 exec, exec, s[2:3]
	s_and_saveexec_b64 s[2:3], s[0:1]
	s_cbranch_execnz .LBB7_357
	s_branch .LBB7_358
.LBB7_871:
	s_movk_i32 s0, 0x80
	v_cmp_eq_u16_e32 vcc, s0, v82
	s_mov_b64 s[0:1], -1
                                        ; implicit-def: $sgpr7
	s_and_saveexec_b64 s[4:5], vcc
; %bb.872:
	s_mov_b32 s7, 0x7f800001
	s_xor_b64 s[0:1], exec, -1
; %bb.873:
	s_or_b64 exec, exec, s[4:5]
	s_and_b64 s[0:1], s[0:1], exec
                                        ; implicit-def: $vgpr82
	s_or_saveexec_b64 s[2:3], s[2:3]
	v_mov_b32_e32 v170, s7
	s_xor_b64 exec, exec, s[2:3]
	s_cbranch_execz .LBB7_360
.LBB7_874:
	v_cmp_ne_u16_e32 vcc, 0, v82
	s_andn2_b64 s[0:1], s[0:1], exec
	s_and_b64 s[4:5], vcc, exec
	v_mov_b32_e32 v170, 0
	s_or_b64 s[0:1], s[0:1], s[4:5]
	s_or_b64 exec, exec, s[2:3]
	s_and_saveexec_b64 s[2:3], s[0:1]
	s_cbranch_execnz .LBB7_361
	s_branch .LBB7_362
.LBB7_875:
	s_movk_i32 s0, 0x80
	v_cmp_eq_u16_sdwa s[10:11], v76, s0 src0_sel:BYTE_0 src1_sel:DWORD
	s_mov_b64 s[0:1], -1
                                        ; implicit-def: $sgpr7
	s_and_saveexec_b64 s[4:5], s[10:11]
; %bb.876:
	s_mov_b32 s7, 0x7f800001
	s_xor_b64 s[0:1], exec, -1
; %bb.877:
	s_or_b64 exec, exec, s[4:5]
	s_and_b64 s[0:1], s[0:1], exec
	s_or_saveexec_b64 s[2:3], s[2:3]
	v_mov_b32_e32 v75, s7
	s_xor_b64 exec, exec, s[2:3]
	s_cbranch_execz .LBB7_364
.LBB7_878:
	v_mov_b32_e32 v75, 0
	v_cmp_ne_u16_sdwa s[4:5], v76, v75 src0_sel:BYTE_0 src1_sel:DWORD
	s_andn2_b64 s[0:1], s[0:1], exec
	s_and_b64 s[4:5], s[4:5], exec
	s_or_b64 s[0:1], s[0:1], s[4:5]
	s_or_b64 exec, exec, s[2:3]
	s_and_saveexec_b64 s[2:3], s[0:1]
	s_cbranch_execnz .LBB7_365
	s_branch .LBB7_366
.LBB7_879:
	s_movk_i32 s0, 0x80
	v_cmp_eq_u16_sdwa s[10:11], v76, s0 src0_sel:BYTE_1 src1_sel:DWORD
	s_mov_b64 s[0:1], -1
                                        ; implicit-def: $sgpr7
	s_and_saveexec_b64 s[4:5], s[10:11]
; %bb.880:
	s_mov_b32 s7, 0x7f800001
	s_xor_b64 s[0:1], exec, -1
; %bb.881:
	s_or_b64 exec, exec, s[4:5]
	s_and_b64 s[0:1], s[0:1], exec
	s_or_saveexec_b64 s[2:3], s[2:3]
	v_mov_b32_e32 v171, s7
	s_xor_b64 exec, exec, s[2:3]
	s_cbranch_execz .LBB7_368
.LBB7_882:
	v_mov_b32_e32 v171, 0
	v_cmp_ne_u16_sdwa s[4:5], v76, v171 src0_sel:BYTE_1 src1_sel:DWORD
	s_andn2_b64 s[0:1], s[0:1], exec
	s_and_b64 s[4:5], s[4:5], exec
	s_or_b64 s[0:1], s[0:1], s[4:5]
	s_or_b64 exec, exec, s[2:3]
	s_and_saveexec_b64 s[2:3], s[0:1]
	s_cbranch_execnz .LBB7_369
	s_branch .LBB7_370
.LBB7_883:
	s_movk_i32 s0, 0x80
	v_cmp_eq_u16_e32 vcc, s0, v82
	s_mov_b64 s[0:1], -1
                                        ; implicit-def: $sgpr7
	s_and_saveexec_b64 s[4:5], vcc
; %bb.884:
	s_mov_b32 s7, 0x7f800001
	s_xor_b64 s[0:1], exec, -1
; %bb.885:
	s_or_b64 exec, exec, s[4:5]
	s_and_b64 s[0:1], s[0:1], exec
                                        ; implicit-def: $vgpr82
	s_or_saveexec_b64 s[2:3], s[2:3]
	v_mov_b32_e32 v172, s7
	s_xor_b64 exec, exec, s[2:3]
	s_cbranch_execz .LBB7_372
.LBB7_886:
	v_cmp_ne_u16_e32 vcc, 0, v82
	s_andn2_b64 s[0:1], s[0:1], exec
	s_and_b64 s[4:5], vcc, exec
	v_mov_b32_e32 v172, 0
	s_or_b64 s[0:1], s[0:1], s[4:5]
	s_or_b64 exec, exec, s[2:3]
	s_and_saveexec_b64 s[2:3], s[0:1]
	s_cbranch_execnz .LBB7_373
	s_branch .LBB7_374
.LBB7_887:
	s_movk_i32 s0, 0x80
	v_cmp_eq_u16_e32 vcc, s0, v82
	s_mov_b64 s[0:1], -1
                                        ; implicit-def: $sgpr7
	s_and_saveexec_b64 s[4:5], vcc
; %bb.888:
	s_mov_b32 s7, 0x7f800001
	s_xor_b64 s[0:1], exec, -1
; %bb.889:
	s_or_b64 exec, exec, s[4:5]
	s_and_b64 s[0:1], s[0:1], exec
                                        ; implicit-def: $vgpr82
	s_or_saveexec_b64 s[2:3], s[2:3]
	v_mov_b32_e32 v173, s7
	s_xor_b64 exec, exec, s[2:3]
	s_cbranch_execz .LBB7_376
.LBB7_890:
	v_cmp_ne_u16_e32 vcc, 0, v82
	s_andn2_b64 s[0:1], s[0:1], exec
	s_and_b64 s[4:5], vcc, exec
	v_mov_b32_e32 v173, 0
	s_or_b64 s[0:1], s[0:1], s[4:5]
	s_or_b64 exec, exec, s[2:3]
	s_and_saveexec_b64 s[2:3], s[0:1]
	s_cbranch_execnz .LBB7_377
	s_branch .LBB7_378
.LBB7_891:
	s_movk_i32 s0, 0x80
	v_cmp_eq_u16_sdwa s[10:11], v77, s0 src0_sel:BYTE_0 src1_sel:DWORD
	s_mov_b64 s[0:1], -1
                                        ; implicit-def: $sgpr7
	s_and_saveexec_b64 s[4:5], s[10:11]
; %bb.892:
	s_mov_b32 s7, 0x7f800001
	s_xor_b64 s[0:1], exec, -1
; %bb.893:
	s_or_b64 exec, exec, s[4:5]
	s_and_b64 s[0:1], s[0:1], exec
	s_or_saveexec_b64 s[2:3], s[2:3]
	v_mov_b32_e32 v76, s7
	s_xor_b64 exec, exec, s[2:3]
	s_cbranch_execz .LBB7_380
.LBB7_894:
	v_mov_b32_e32 v76, 0
	v_cmp_ne_u16_sdwa s[4:5], v77, v76 src0_sel:BYTE_0 src1_sel:DWORD
	s_andn2_b64 s[0:1], s[0:1], exec
	s_and_b64 s[4:5], s[4:5], exec
	s_or_b64 s[0:1], s[0:1], s[4:5]
	s_or_b64 exec, exec, s[2:3]
	s_and_saveexec_b64 s[2:3], s[0:1]
	s_cbranch_execnz .LBB7_381
	s_branch .LBB7_382
.LBB7_895:
	s_movk_i32 s0, 0x80
	v_cmp_eq_u16_sdwa s[10:11], v77, s0 src0_sel:BYTE_1 src1_sel:DWORD
	s_mov_b64 s[0:1], -1
                                        ; implicit-def: $sgpr7
	s_and_saveexec_b64 s[4:5], s[10:11]
; %bb.896:
	s_mov_b32 s7, 0x7f800001
	s_xor_b64 s[0:1], exec, -1
; %bb.897:
	s_or_b64 exec, exec, s[4:5]
	s_and_b64 s[0:1], s[0:1], exec
	s_or_saveexec_b64 s[2:3], s[2:3]
	v_mov_b32_e32 v174, s7
	s_xor_b64 exec, exec, s[2:3]
	s_cbranch_execz .LBB7_384
.LBB7_898:
	v_mov_b32_e32 v174, 0
	v_cmp_ne_u16_sdwa s[4:5], v77, v174 src0_sel:BYTE_1 src1_sel:DWORD
	s_andn2_b64 s[0:1], s[0:1], exec
	s_and_b64 s[4:5], s[4:5], exec
	s_or_b64 s[0:1], s[0:1], s[4:5]
	s_or_b64 exec, exec, s[2:3]
	s_and_saveexec_b64 s[2:3], s[0:1]
	s_cbranch_execnz .LBB7_385
	s_branch .LBB7_386
.LBB7_899:
	s_movk_i32 s0, 0x80
	v_cmp_eq_u16_e32 vcc, s0, v82
	s_mov_b64 s[0:1], -1
                                        ; implicit-def: $sgpr7
	s_and_saveexec_b64 s[4:5], vcc
; %bb.900:
	s_mov_b32 s7, 0x7f800001
	s_xor_b64 s[0:1], exec, -1
; %bb.901:
	s_or_b64 exec, exec, s[4:5]
	s_and_b64 s[0:1], s[0:1], exec
                                        ; implicit-def: $vgpr82
	s_or_saveexec_b64 s[2:3], s[2:3]
	v_mov_b32_e32 v175, s7
	s_xor_b64 exec, exec, s[2:3]
	s_cbranch_execz .LBB7_388
.LBB7_902:
	v_cmp_ne_u16_e32 vcc, 0, v82
	s_andn2_b64 s[0:1], s[0:1], exec
	s_and_b64 s[4:5], vcc, exec
	v_mov_b32_e32 v175, 0
	s_or_b64 s[0:1], s[0:1], s[4:5]
	s_or_b64 exec, exec, s[2:3]
	s_and_saveexec_b64 s[2:3], s[0:1]
	s_cbranch_execnz .LBB7_389
	s_branch .LBB7_390
.LBB7_903:
	s_movk_i32 s0, 0x80
	v_cmp_eq_u16_e32 vcc, s0, v82
	s_mov_b64 s[0:1], -1
                                        ; implicit-def: $sgpr7
	s_and_saveexec_b64 s[4:5], vcc
; %bb.904:
	s_mov_b32 s7, 0x7f800001
	s_xor_b64 s[0:1], exec, -1
; %bb.905:
	s_or_b64 exec, exec, s[4:5]
	s_and_b64 s[0:1], s[0:1], exec
                                        ; implicit-def: $vgpr82
	s_or_saveexec_b64 s[2:3], s[2:3]
	v_mov_b32_e32 v176, s7
	s_xor_b64 exec, exec, s[2:3]
	s_cbranch_execz .LBB7_392
.LBB7_906:
	v_cmp_ne_u16_e32 vcc, 0, v82
	s_andn2_b64 s[0:1], s[0:1], exec
	s_and_b64 s[4:5], vcc, exec
	v_mov_b32_e32 v176, 0
	s_or_b64 s[0:1], s[0:1], s[4:5]
	s_or_b64 exec, exec, s[2:3]
	s_and_saveexec_b64 s[2:3], s[0:1]
	s_cbranch_execnz .LBB7_393
	s_branch .LBB7_394
.LBB7_907:
	s_movk_i32 s0, 0x80
	v_cmp_eq_u16_sdwa s[10:11], v70, s0 src0_sel:BYTE_0 src1_sel:DWORD
	s_mov_b64 s[0:1], -1
                                        ; implicit-def: $sgpr7
	s_and_saveexec_b64 s[4:5], s[10:11]
; %bb.908:
	s_mov_b32 s7, 0x7f800001
	s_xor_b64 s[0:1], exec, -1
; %bb.909:
	s_or_b64 exec, exec, s[4:5]
	s_and_b64 s[0:1], s[0:1], exec
	s_or_saveexec_b64 s[2:3], s[2:3]
	v_mov_b32_e32 v77, s7
	s_xor_b64 exec, exec, s[2:3]
	s_cbranch_execz .LBB7_396
.LBB7_910:
	v_mov_b32_e32 v77, 0
	v_cmp_ne_u16_sdwa s[4:5], v70, v77 src0_sel:BYTE_0 src1_sel:DWORD
	s_andn2_b64 s[0:1], s[0:1], exec
	s_and_b64 s[4:5], s[4:5], exec
	s_or_b64 s[0:1], s[0:1], s[4:5]
	s_or_b64 exec, exec, s[2:3]
	s_and_saveexec_b64 s[2:3], s[0:1]
	s_cbranch_execnz .LBB7_397
	s_branch .LBB7_398
.LBB7_911:
	s_movk_i32 s0, 0x80
	v_cmp_eq_u16_sdwa s[10:11], v70, s0 src0_sel:BYTE_1 src1_sel:DWORD
	s_mov_b64 s[0:1], -1
                                        ; implicit-def: $sgpr7
	s_and_saveexec_b64 s[4:5], s[10:11]
; %bb.912:
	s_mov_b32 s7, 0x7f800001
	s_xor_b64 s[0:1], exec, -1
; %bb.913:
	s_or_b64 exec, exec, s[4:5]
	s_and_b64 s[0:1], s[0:1], exec
	s_or_saveexec_b64 s[2:3], s[2:3]
	v_mov_b32_e32 v177, s7
	s_xor_b64 exec, exec, s[2:3]
	s_cbranch_execz .LBB7_400
.LBB7_914:
	v_mov_b32_e32 v177, 0
	v_cmp_ne_u16_sdwa s[4:5], v70, v177 src0_sel:BYTE_1 src1_sel:DWORD
	s_andn2_b64 s[0:1], s[0:1], exec
	s_and_b64 s[4:5], s[4:5], exec
	s_or_b64 s[0:1], s[0:1], s[4:5]
	s_or_b64 exec, exec, s[2:3]
	s_and_saveexec_b64 s[2:3], s[0:1]
	s_cbranch_execnz .LBB7_401
	s_branch .LBB7_402
.LBB7_915:
	s_movk_i32 s0, 0x80
	v_cmp_eq_u16_e32 vcc, s0, v82
	s_mov_b64 s[0:1], -1
                                        ; implicit-def: $sgpr7
	s_and_saveexec_b64 s[4:5], vcc
; %bb.916:
	s_mov_b32 s7, 0x7f800001
	s_xor_b64 s[0:1], exec, -1
; %bb.917:
	s_or_b64 exec, exec, s[4:5]
	s_and_b64 s[0:1], s[0:1], exec
                                        ; implicit-def: $vgpr82
	s_or_saveexec_b64 s[2:3], s[2:3]
	v_mov_b32_e32 v178, s7
	s_xor_b64 exec, exec, s[2:3]
	s_cbranch_execz .LBB7_404
.LBB7_918:
	v_cmp_ne_u16_e32 vcc, 0, v82
	s_andn2_b64 s[0:1], s[0:1], exec
	s_and_b64 s[4:5], vcc, exec
	v_mov_b32_e32 v178, 0
	s_or_b64 s[0:1], s[0:1], s[4:5]
	s_or_b64 exec, exec, s[2:3]
	s_and_saveexec_b64 s[2:3], s[0:1]
	s_cbranch_execnz .LBB7_405
	s_branch .LBB7_406
.LBB7_919:
	s_movk_i32 s0, 0x80
	v_cmp_eq_u16_e32 vcc, s0, v82
	s_mov_b64 s[0:1], -1
                                        ; implicit-def: $sgpr7
	s_and_saveexec_b64 s[4:5], vcc
; %bb.920:
	s_mov_b32 s7, 0x7f800001
	s_xor_b64 s[0:1], exec, -1
; %bb.921:
	s_or_b64 exec, exec, s[4:5]
	s_and_b64 s[0:1], s[0:1], exec
                                        ; implicit-def: $vgpr82
	s_or_saveexec_b64 s[2:3], s[2:3]
	v_mov_b32_e32 v179, s7
	s_xor_b64 exec, exec, s[2:3]
	s_cbranch_execz .LBB7_408
.LBB7_922:
	v_cmp_ne_u16_e32 vcc, 0, v82
	s_andn2_b64 s[0:1], s[0:1], exec
	s_and_b64 s[4:5], vcc, exec
	v_mov_b32_e32 v179, 0
	s_or_b64 s[0:1], s[0:1], s[4:5]
	s_or_b64 exec, exec, s[2:3]
	s_and_saveexec_b64 s[2:3], s[0:1]
	s_cbranch_execnz .LBB7_409
	s_branch .LBB7_410
.LBB7_923:
	s_movk_i32 s0, 0x80
	v_cmp_eq_u16_sdwa s[10:11], v71, s0 src0_sel:BYTE_0 src1_sel:DWORD
	s_mov_b64 s[0:1], -1
                                        ; implicit-def: $sgpr7
	s_and_saveexec_b64 s[4:5], s[10:11]
; %bb.924:
	s_mov_b32 s7, 0x7f800001
	s_xor_b64 s[0:1], exec, -1
; %bb.925:
	s_or_b64 exec, exec, s[4:5]
	s_and_b64 s[0:1], s[0:1], exec
	s_or_saveexec_b64 s[2:3], s[2:3]
	v_mov_b32_e32 v70, s7
	s_xor_b64 exec, exec, s[2:3]
	s_cbranch_execz .LBB7_412
.LBB7_926:
	v_mov_b32_e32 v70, 0
	v_cmp_ne_u16_sdwa s[4:5], v71, v70 src0_sel:BYTE_0 src1_sel:DWORD
	s_andn2_b64 s[0:1], s[0:1], exec
	s_and_b64 s[4:5], s[4:5], exec
	s_or_b64 s[0:1], s[0:1], s[4:5]
	s_or_b64 exec, exec, s[2:3]
	s_and_saveexec_b64 s[2:3], s[0:1]
	s_cbranch_execnz .LBB7_413
	s_branch .LBB7_414
.LBB7_927:
	s_movk_i32 s0, 0x80
	v_cmp_eq_u16_sdwa s[10:11], v71, s0 src0_sel:BYTE_1 src1_sel:DWORD
	s_mov_b64 s[0:1], -1
                                        ; implicit-def: $sgpr7
	s_and_saveexec_b64 s[4:5], s[10:11]
; %bb.928:
	s_mov_b32 s7, 0x7f800001
	s_xor_b64 s[0:1], exec, -1
; %bb.929:
	s_or_b64 exec, exec, s[4:5]
	s_and_b64 s[0:1], s[0:1], exec
	s_or_saveexec_b64 s[2:3], s[2:3]
	v_mov_b32_e32 v180, s7
	s_xor_b64 exec, exec, s[2:3]
	s_cbranch_execz .LBB7_416
.LBB7_930:
	v_mov_b32_e32 v180, 0
	v_cmp_ne_u16_sdwa s[4:5], v71, v180 src0_sel:BYTE_1 src1_sel:DWORD
	s_andn2_b64 s[0:1], s[0:1], exec
	s_and_b64 s[4:5], s[4:5], exec
	s_or_b64 s[0:1], s[0:1], s[4:5]
	s_or_b64 exec, exec, s[2:3]
	s_and_saveexec_b64 s[2:3], s[0:1]
	s_cbranch_execnz .LBB7_417
	s_branch .LBB7_418
.LBB7_931:
	s_movk_i32 s0, 0x80
	v_cmp_eq_u16_e32 vcc, s0, v82
	s_mov_b64 s[0:1], -1
                                        ; implicit-def: $sgpr7
	s_and_saveexec_b64 s[4:5], vcc
; %bb.932:
	s_mov_b32 s7, 0x7f800001
	s_xor_b64 s[0:1], exec, -1
; %bb.933:
	s_or_b64 exec, exec, s[4:5]
	s_and_b64 s[0:1], s[0:1], exec
                                        ; implicit-def: $vgpr82
	s_or_saveexec_b64 s[2:3], s[2:3]
	v_mov_b32_e32 v181, s7
	s_xor_b64 exec, exec, s[2:3]
	s_cbranch_execz .LBB7_420
.LBB7_934:
	v_cmp_ne_u16_e32 vcc, 0, v82
	s_andn2_b64 s[0:1], s[0:1], exec
	s_and_b64 s[4:5], vcc, exec
	v_mov_b32_e32 v181, 0
	s_or_b64 s[0:1], s[0:1], s[4:5]
	s_or_b64 exec, exec, s[2:3]
	s_and_saveexec_b64 s[2:3], s[0:1]
	s_cbranch_execnz .LBB7_421
	s_branch .LBB7_422
.LBB7_935:
	s_movk_i32 s0, 0x80
	v_cmp_eq_u16_e32 vcc, s0, v82
	s_mov_b64 s[0:1], -1
                                        ; implicit-def: $sgpr7
	s_and_saveexec_b64 s[4:5], vcc
; %bb.936:
	s_mov_b32 s7, 0x7f800001
	s_xor_b64 s[0:1], exec, -1
; %bb.937:
	s_or_b64 exec, exec, s[4:5]
	s_and_b64 s[0:1], s[0:1], exec
                                        ; implicit-def: $vgpr82
	s_or_saveexec_b64 s[2:3], s[2:3]
	v_mov_b32_e32 v182, s7
	s_xor_b64 exec, exec, s[2:3]
	s_cbranch_execz .LBB7_424
.LBB7_938:
	v_cmp_ne_u16_e32 vcc, 0, v82
	s_andn2_b64 s[0:1], s[0:1], exec
	s_and_b64 s[4:5], vcc, exec
	v_mov_b32_e32 v182, 0
	s_or_b64 s[0:1], s[0:1], s[4:5]
	s_or_b64 exec, exec, s[2:3]
	s_and_saveexec_b64 s[2:3], s[0:1]
	s_cbranch_execnz .LBB7_425
	s_branch .LBB7_426
.LBB7_939:
	s_movk_i32 s0, 0x80
	v_cmp_eq_u16_sdwa s[10:11], v72, s0 src0_sel:BYTE_0 src1_sel:DWORD
	s_mov_b64 s[0:1], -1
                                        ; implicit-def: $sgpr7
	s_and_saveexec_b64 s[4:5], s[10:11]
; %bb.940:
	s_mov_b32 s7, 0x7f800001
	s_xor_b64 s[0:1], exec, -1
; %bb.941:
	s_or_b64 exec, exec, s[4:5]
	s_and_b64 s[0:1], s[0:1], exec
	s_or_saveexec_b64 s[2:3], s[2:3]
	v_mov_b32_e32 v71, s7
	s_xor_b64 exec, exec, s[2:3]
	s_cbranch_execz .LBB7_428
.LBB7_942:
	v_mov_b32_e32 v71, 0
	v_cmp_ne_u16_sdwa s[4:5], v72, v71 src0_sel:BYTE_0 src1_sel:DWORD
	s_andn2_b64 s[0:1], s[0:1], exec
	s_and_b64 s[4:5], s[4:5], exec
	s_or_b64 s[0:1], s[0:1], s[4:5]
	s_or_b64 exec, exec, s[2:3]
	s_and_saveexec_b64 s[2:3], s[0:1]
	s_cbranch_execnz .LBB7_429
	s_branch .LBB7_430
.LBB7_943:
	s_movk_i32 s0, 0x80
	v_cmp_eq_u16_sdwa s[10:11], v72, s0 src0_sel:BYTE_1 src1_sel:DWORD
	s_mov_b64 s[0:1], -1
                                        ; implicit-def: $sgpr7
	s_and_saveexec_b64 s[4:5], s[10:11]
; %bb.944:
	s_mov_b32 s7, 0x7f800001
	s_xor_b64 s[0:1], exec, -1
; %bb.945:
	s_or_b64 exec, exec, s[4:5]
	s_and_b64 s[0:1], s[0:1], exec
	s_or_saveexec_b64 s[2:3], s[2:3]
	v_mov_b32_e32 v84, s7
	s_xor_b64 exec, exec, s[2:3]
	s_cbranch_execz .LBB7_432
.LBB7_946:
	v_mov_b32_e32 v84, 0
	v_cmp_ne_u16_sdwa s[4:5], v72, v84 src0_sel:BYTE_1 src1_sel:DWORD
	s_andn2_b64 s[0:1], s[0:1], exec
	s_and_b64 s[4:5], s[4:5], exec
	s_or_b64 s[0:1], s[0:1], s[4:5]
	s_or_b64 exec, exec, s[2:3]
	s_and_saveexec_b64 s[2:3], s[0:1]
	s_cbranch_execnz .LBB7_433
	s_branch .LBB7_434
.LBB7_947:
	s_movk_i32 s0, 0x80
	v_cmp_eq_u16_e32 vcc, s0, v82
	s_mov_b64 s[0:1], -1
                                        ; implicit-def: $sgpr7
	s_and_saveexec_b64 s[4:5], vcc
; %bb.948:
	s_mov_b32 s7, 0x7f800001
	s_xor_b64 s[0:1], exec, -1
; %bb.949:
	s_or_b64 exec, exec, s[4:5]
	s_and_b64 s[0:1], s[0:1], exec
                                        ; implicit-def: $vgpr82
	s_or_saveexec_b64 s[2:3], s[2:3]
	v_mov_b32_e32 v85, s7
	s_xor_b64 exec, exec, s[2:3]
	s_cbranch_execz .LBB7_436
.LBB7_950:
	v_cmp_ne_u16_e32 vcc, 0, v82
	s_andn2_b64 s[0:1], s[0:1], exec
	s_and_b64 s[4:5], vcc, exec
	v_mov_b32_e32 v85, 0
	s_or_b64 s[0:1], s[0:1], s[4:5]
	s_or_b64 exec, exec, s[2:3]
	s_and_saveexec_b64 s[2:3], s[0:1]
	s_cbranch_execnz .LBB7_437
	s_branch .LBB7_438
.LBB7_951:
	s_movk_i32 s0, 0x80
	v_cmp_eq_u16_e32 vcc, s0, v82
	s_mov_b64 s[0:1], -1
                                        ; implicit-def: $sgpr7
	s_and_saveexec_b64 s[4:5], vcc
; %bb.952:
	s_mov_b32 s7, 0x7f800001
	s_xor_b64 s[0:1], exec, -1
; %bb.953:
	s_or_b64 exec, exec, s[4:5]
	s_and_b64 s[0:1], s[0:1], exec
                                        ; implicit-def: $vgpr82
	s_or_saveexec_b64 s[2:3], s[2:3]
	v_mov_b32_e32 v183, s7
	s_xor_b64 exec, exec, s[2:3]
	s_cbranch_execz .LBB7_440
.LBB7_954:
	v_cmp_ne_u16_e32 vcc, 0, v82
	s_andn2_b64 s[0:1], s[0:1], exec
	s_and_b64 s[4:5], vcc, exec
	v_mov_b32_e32 v183, 0
	s_or_b64 s[0:1], s[0:1], s[4:5]
	s_or_b64 exec, exec, s[2:3]
	s_and_saveexec_b64 s[2:3], s[0:1]
	s_cbranch_execnz .LBB7_441
	s_branch .LBB7_442
.LBB7_955:
	s_movk_i32 s0, 0x80
	v_cmp_eq_u16_sdwa s[10:11], v73, s0 src0_sel:BYTE_0 src1_sel:DWORD
	s_mov_b64 s[0:1], -1
                                        ; implicit-def: $sgpr7
	s_and_saveexec_b64 s[4:5], s[10:11]
; %bb.956:
	s_mov_b32 s7, 0x7f800001
	s_xor_b64 s[0:1], exec, -1
; %bb.957:
	s_or_b64 exec, exec, s[4:5]
	s_and_b64 s[0:1], s[0:1], exec
	s_or_saveexec_b64 s[2:3], s[2:3]
	v_mov_b32_e32 v72, s7
	s_xor_b64 exec, exec, s[2:3]
	s_cbranch_execz .LBB7_444
.LBB7_958:
	v_mov_b32_e32 v72, 0
	v_cmp_ne_u16_sdwa s[4:5], v73, v72 src0_sel:BYTE_0 src1_sel:DWORD
	s_andn2_b64 s[0:1], s[0:1], exec
	s_and_b64 s[4:5], s[4:5], exec
	s_or_b64 s[0:1], s[0:1], s[4:5]
	s_or_b64 exec, exec, s[2:3]
	s_and_saveexec_b64 s[2:3], s[0:1]
	s_cbranch_execnz .LBB7_445
	s_branch .LBB7_446
.LBB7_959:
	s_movk_i32 s0, 0x80
	v_cmp_eq_u16_sdwa s[10:11], v73, s0 src0_sel:BYTE_1 src1_sel:DWORD
	s_mov_b64 s[0:1], -1
                                        ; implicit-def: $sgpr7
	s_and_saveexec_b64 s[4:5], s[10:11]
; %bb.960:
	s_mov_b32 s7, 0x7f800001
	s_xor_b64 s[0:1], exec, -1
; %bb.961:
	s_or_b64 exec, exec, s[4:5]
	s_and_b64 s[0:1], s[0:1], exec
	s_or_saveexec_b64 s[2:3], s[2:3]
	v_mov_b32_e32 v82, s7
	s_xor_b64 exec, exec, s[2:3]
	s_cbranch_execz .LBB7_448
.LBB7_962:
	v_mov_b32_e32 v82, 0
	v_cmp_ne_u16_sdwa s[4:5], v73, v82 src0_sel:BYTE_1 src1_sel:DWORD
	s_andn2_b64 s[0:1], s[0:1], exec
	s_and_b64 s[4:5], s[4:5], exec
	s_or_b64 s[0:1], s[0:1], s[4:5]
	s_or_b64 exec, exec, s[2:3]
	s_and_saveexec_b64 s[2:3], s[0:1]
	s_cbranch_execnz .LBB7_449
	s_branch .LBB7_450
.LBB7_963:
	s_movk_i32 s0, 0x80
	v_cmp_eq_u16_e32 vcc, s0, v184
	s_mov_b64 s[0:1], -1
                                        ; implicit-def: $sgpr7
	s_and_saveexec_b64 s[4:5], vcc
; %bb.964:
	s_mov_b32 s7, 0x7f800001
	s_xor_b64 s[0:1], exec, -1
; %bb.965:
	s_or_b64 exec, exec, s[4:5]
	s_and_b64 s[0:1], s[0:1], exec
                                        ; implicit-def: $vgpr184
	s_or_saveexec_b64 s[2:3], s[2:3]
	v_mov_b32_e32 v83, s7
	s_xor_b64 exec, exec, s[2:3]
	s_cbranch_execz .LBB7_452
.LBB7_966:
	v_cmp_ne_u16_e32 vcc, 0, v184
	s_andn2_b64 s[0:1], s[0:1], exec
	s_and_b64 s[4:5], vcc, exec
	v_mov_b32_e32 v83, 0
	s_or_b64 s[0:1], s[0:1], s[4:5]
	s_or_b64 exec, exec, s[2:3]
	s_and_saveexec_b64 s[2:3], s[0:1]
	s_cbranch_execnz .LBB7_453
	s_branch .LBB7_454
.LBB7_967:
	s_movk_i32 s0, 0x80
	v_cmp_eq_u16_e32 vcc, s0, v185
	s_mov_b64 s[0:1], -1
                                        ; implicit-def: $sgpr7
	s_and_saveexec_b64 s[4:5], vcc
; %bb.968:
	s_mov_b32 s7, 0x7f800001
	s_xor_b64 s[0:1], exec, -1
; %bb.969:
	s_or_b64 exec, exec, s[4:5]
	s_and_b64 s[0:1], s[0:1], exec
                                        ; implicit-def: $vgpr185
	s_or_saveexec_b64 s[2:3], s[2:3]
	v_mov_b32_e32 v184, s7
	s_xor_b64 exec, exec, s[2:3]
	s_cbranch_execz .LBB7_456
.LBB7_970:
	v_cmp_ne_u16_e32 vcc, 0, v185
	s_andn2_b64 s[0:1], s[0:1], exec
	s_and_b64 s[4:5], vcc, exec
	v_mov_b32_e32 v184, 0
	s_or_b64 s[0:1], s[0:1], s[4:5]
	s_or_b64 exec, exec, s[2:3]
	s_and_saveexec_b64 s[2:3], s[0:1]
	s_cbranch_execnz .LBB7_457
	s_branch .LBB7_458
.LBB7_971:
	s_movk_i32 s0, 0x80
	v_cmp_eq_u16_sdwa s[10:11], v66, s0 src0_sel:BYTE_0 src1_sel:DWORD
	s_mov_b64 s[0:1], -1
                                        ; implicit-def: $sgpr7
	s_and_saveexec_b64 s[4:5], s[10:11]
; %bb.972:
	s_mov_b32 s7, 0x7f800001
	s_xor_b64 s[0:1], exec, -1
; %bb.973:
	s_or_b64 exec, exec, s[4:5]
	s_and_b64 s[0:1], s[0:1], exec
	s_or_saveexec_b64 s[2:3], s[2:3]
	v_mov_b32_e32 v185, s7
	s_xor_b64 exec, exec, s[2:3]
	s_cbranch_execz .LBB7_460
.LBB7_974:
	v_mov_b32_e32 v185, 0
	v_cmp_ne_u16_sdwa s[4:5], v66, v185 src0_sel:BYTE_0 src1_sel:DWORD
	s_andn2_b64 s[0:1], s[0:1], exec
	s_and_b64 s[4:5], s[4:5], exec
	s_or_b64 s[0:1], s[0:1], s[4:5]
	s_or_b64 exec, exec, s[2:3]
	s_and_saveexec_b64 s[2:3], s[0:1]
	s_cbranch_execnz .LBB7_461
	s_branch .LBB7_462
.LBB7_975:
	s_movk_i32 s0, 0x80
	v_cmp_eq_u16_sdwa s[10:11], v66, s0 src0_sel:BYTE_1 src1_sel:DWORD
	s_mov_b64 s[0:1], -1
                                        ; implicit-def: $sgpr7
	s_and_saveexec_b64 s[4:5], s[10:11]
; %bb.976:
	s_mov_b32 s7, 0x7f800001
	s_xor_b64 s[0:1], exec, -1
; %bb.977:
	s_or_b64 exec, exec, s[4:5]
	s_and_b64 s[0:1], s[0:1], exec
	s_or_saveexec_b64 s[2:3], s[2:3]
	v_mov_b32_e32 v186, s7
	s_xor_b64 exec, exec, s[2:3]
	s_cbranch_execz .LBB7_464
.LBB7_978:
	v_mov_b32_e32 v186, 0
	v_cmp_ne_u16_sdwa s[4:5], v66, v186 src0_sel:BYTE_1 src1_sel:DWORD
	s_andn2_b64 s[0:1], s[0:1], exec
	s_and_b64 s[4:5], s[4:5], exec
	s_or_b64 s[0:1], s[0:1], s[4:5]
	s_or_b64 exec, exec, s[2:3]
	s_and_saveexec_b64 s[2:3], s[0:1]
	s_cbranch_execnz .LBB7_465
	s_branch .LBB7_466
.LBB7_979:
	s_movk_i32 s0, 0x80
	v_cmp_eq_u16_e32 vcc, s0, v73
	s_mov_b64 s[0:1], -1
                                        ; implicit-def: $sgpr7
	s_and_saveexec_b64 s[4:5], vcc
; %bb.980:
	s_mov_b32 s7, 0x7f800001
	s_xor_b64 s[0:1], exec, -1
; %bb.981:
	s_or_b64 exec, exec, s[4:5]
	s_and_b64 s[0:1], s[0:1], exec
                                        ; implicit-def: $vgpr73
	s_or_saveexec_b64 s[2:3], s[2:3]
	v_mov_b32_e32 v187, s7
	s_xor_b64 exec, exec, s[2:3]
	s_cbranch_execz .LBB7_468
.LBB7_982:
	v_cmp_ne_u16_e32 vcc, 0, v73
	s_andn2_b64 s[0:1], s[0:1], exec
	s_and_b64 s[4:5], vcc, exec
	v_mov_b32_e32 v187, 0
	s_or_b64 s[0:1], s[0:1], s[4:5]
	s_or_b64 exec, exec, s[2:3]
	s_and_saveexec_b64 s[2:3], s[0:1]
	s_cbranch_execnz .LBB7_469
	s_branch .LBB7_470
.LBB7_983:
	s_movk_i32 s0, 0x80
	v_cmp_eq_u16_e32 vcc, s0, v73
	s_mov_b64 s[0:1], -1
                                        ; implicit-def: $sgpr7
	s_and_saveexec_b64 s[4:5], vcc
; %bb.984:
	s_mov_b32 s7, 0x7f800001
	s_xor_b64 s[0:1], exec, -1
; %bb.985:
	s_or_b64 exec, exec, s[4:5]
	s_and_b64 s[0:1], s[0:1], exec
                                        ; implicit-def: $vgpr73
	s_or_saveexec_b64 s[2:3], s[2:3]
	v_mov_b32_e32 v188, s7
	s_xor_b64 exec, exec, s[2:3]
	s_cbranch_execz .LBB7_472
.LBB7_986:
	v_cmp_ne_u16_e32 vcc, 0, v73
	s_andn2_b64 s[0:1], s[0:1], exec
	s_and_b64 s[4:5], vcc, exec
	v_mov_b32_e32 v188, 0
	s_or_b64 s[0:1], s[0:1], s[4:5]
	s_or_b64 exec, exec, s[2:3]
	s_and_saveexec_b64 s[2:3], s[0:1]
	s_cbranch_execnz .LBB7_473
	s_branch .LBB7_474
.LBB7_987:
	s_movk_i32 s0, 0x80
	v_cmp_eq_u16_sdwa s[10:11], v67, s0 src0_sel:BYTE_0 src1_sel:DWORD
	s_mov_b64 s[0:1], -1
                                        ; implicit-def: $sgpr7
	s_and_saveexec_b64 s[4:5], s[10:11]
; %bb.988:
	s_mov_b32 s7, 0x7f800001
	s_xor_b64 s[0:1], exec, -1
; %bb.989:
	s_or_b64 exec, exec, s[4:5]
	s_and_b64 s[0:1], s[0:1], exec
	s_or_saveexec_b64 s[2:3], s[2:3]
	v_mov_b32_e32 v189, s7
	s_xor_b64 exec, exec, s[2:3]
	s_cbranch_execz .LBB7_476
.LBB7_990:
	v_mov_b32_e32 v189, 0
	v_cmp_ne_u16_sdwa s[4:5], v67, v189 src0_sel:BYTE_0 src1_sel:DWORD
	s_andn2_b64 s[0:1], s[0:1], exec
	s_and_b64 s[4:5], s[4:5], exec
	s_or_b64 s[0:1], s[0:1], s[4:5]
	s_or_b64 exec, exec, s[2:3]
	s_and_saveexec_b64 s[2:3], s[0:1]
	s_cbranch_execnz .LBB7_477
	s_branch .LBB7_478
.LBB7_991:
	s_movk_i32 s0, 0x80
	v_cmp_eq_u16_sdwa s[10:11], v67, s0 src0_sel:BYTE_1 src1_sel:DWORD
	s_mov_b64 s[0:1], -1
                                        ; implicit-def: $sgpr7
	s_and_saveexec_b64 s[4:5], s[10:11]
; %bb.992:
	s_mov_b32 s7, 0x7f800001
	s_xor_b64 s[0:1], exec, -1
; %bb.993:
	s_or_b64 exec, exec, s[4:5]
	s_and_b64 s[0:1], s[0:1], exec
	s_or_saveexec_b64 s[2:3], s[2:3]
	v_mov_b32_e32 v190, s7
	s_xor_b64 exec, exec, s[2:3]
	s_cbranch_execz .LBB7_480
.LBB7_994:
	v_mov_b32_e32 v190, 0
	v_cmp_ne_u16_sdwa s[4:5], v67, v190 src0_sel:BYTE_1 src1_sel:DWORD
	s_andn2_b64 s[0:1], s[0:1], exec
	s_and_b64 s[4:5], s[4:5], exec
	s_or_b64 s[0:1], s[0:1], s[4:5]
	s_or_b64 exec, exec, s[2:3]
	s_and_saveexec_b64 s[2:3], s[0:1]
	s_cbranch_execnz .LBB7_481
	s_branch .LBB7_482
.LBB7_995:
	s_movk_i32 s0, 0x80
	v_cmp_eq_u16_e32 vcc, s0, v66
	s_mov_b64 s[0:1], -1
                                        ; implicit-def: $sgpr7
	s_and_saveexec_b64 s[4:5], vcc
; %bb.996:
	s_mov_b32 s7, 0x7f800001
	s_xor_b64 s[0:1], exec, -1
; %bb.997:
	s_or_b64 exec, exec, s[4:5]
	s_and_b64 s[0:1], s[0:1], exec
                                        ; implicit-def: $vgpr66
	s_or_saveexec_b64 s[2:3], s[2:3]
	v_mov_b32_e32 v191, s7
	s_xor_b64 exec, exec, s[2:3]
	s_cbranch_execz .LBB7_484
.LBB7_998:
	v_cmp_ne_u16_e32 vcc, 0, v66
	s_andn2_b64 s[0:1], s[0:1], exec
	s_and_b64 s[4:5], vcc, exec
	v_mov_b32_e32 v191, 0
	s_or_b64 s[0:1], s[0:1], s[4:5]
	s_or_b64 exec, exec, s[2:3]
	s_and_saveexec_b64 s[2:3], s[0:1]
	s_cbranch_execnz .LBB7_485
	s_branch .LBB7_486
.LBB7_999:
	s_movk_i32 s0, 0x80
	v_cmp_eq_u16_e32 vcc, s0, v66
	s_mov_b64 s[0:1], -1
                                        ; implicit-def: $sgpr7
	s_and_saveexec_b64 s[4:5], vcc
; %bb.1000:
	s_mov_b32 s7, 0x7f800001
	s_xor_b64 s[0:1], exec, -1
; %bb.1001:
	s_or_b64 exec, exec, s[4:5]
	s_and_b64 s[0:1], s[0:1], exec
                                        ; implicit-def: $vgpr66
	s_or_saveexec_b64 s[2:3], s[2:3]
	v_mov_b32_e32 v192, s7
	s_xor_b64 exec, exec, s[2:3]
	s_cbranch_execz .LBB7_488
.LBB7_1002:
	v_cmp_ne_u16_e32 vcc, 0, v66
	s_andn2_b64 s[0:1], s[0:1], exec
	s_and_b64 s[4:5], vcc, exec
	v_mov_b32_e32 v192, 0
	s_or_b64 s[0:1], s[0:1], s[4:5]
	s_or_b64 exec, exec, s[2:3]
	s_and_saveexec_b64 s[2:3], s[0:1]
	s_cbranch_execnz .LBB7_489
	s_branch .LBB7_490
.LBB7_1003:
	s_movk_i32 s0, 0x80
	v_cmp_eq_u16_sdwa s[10:11], v68, s0 src0_sel:BYTE_0 src1_sel:DWORD
	s_mov_b64 s[0:1], -1
                                        ; implicit-def: $sgpr7
	s_and_saveexec_b64 s[4:5], s[10:11]
; %bb.1004:
	s_mov_b32 s7, 0x7f800001
	s_xor_b64 s[0:1], exec, -1
; %bb.1005:
	s_or_b64 exec, exec, s[4:5]
	s_and_b64 s[0:1], s[0:1], exec
	s_or_saveexec_b64 s[2:3], s[2:3]
	v_mov_b32_e32 v193, s7
	s_xor_b64 exec, exec, s[2:3]
	s_cbranch_execz .LBB7_492
.LBB7_1006:
	v_mov_b32_e32 v193, 0
	v_cmp_ne_u16_sdwa s[4:5], v68, v193 src0_sel:BYTE_0 src1_sel:DWORD
	s_andn2_b64 s[0:1], s[0:1], exec
	s_and_b64 s[4:5], s[4:5], exec
	s_or_b64 s[0:1], s[0:1], s[4:5]
	s_or_b64 exec, exec, s[2:3]
	s_and_saveexec_b64 s[2:3], s[0:1]
	s_cbranch_execnz .LBB7_493
	s_branch .LBB7_494
.LBB7_1007:
	s_movk_i32 s0, 0x80
	v_cmp_eq_u16_sdwa s[10:11], v68, s0 src0_sel:BYTE_1 src1_sel:DWORD
	s_mov_b64 s[0:1], -1
                                        ; implicit-def: $sgpr7
	s_and_saveexec_b64 s[4:5], s[10:11]
; %bb.1008:
	s_mov_b32 s7, 0x7f800001
	s_xor_b64 s[0:1], exec, -1
; %bb.1009:
	s_or_b64 exec, exec, s[4:5]
	s_and_b64 s[0:1], s[0:1], exec
	s_or_saveexec_b64 s[2:3], s[2:3]
	v_mov_b32_e32 v194, s7
	s_xor_b64 exec, exec, s[2:3]
	s_cbranch_execz .LBB7_496
.LBB7_1010:
	v_mov_b32_e32 v194, 0
	v_cmp_ne_u16_sdwa s[4:5], v68, v194 src0_sel:BYTE_1 src1_sel:DWORD
	s_andn2_b64 s[0:1], s[0:1], exec
	s_and_b64 s[4:5], s[4:5], exec
	s_or_b64 s[0:1], s[0:1], s[4:5]
	s_or_b64 exec, exec, s[2:3]
	s_and_saveexec_b64 s[2:3], s[0:1]
	s_cbranch_execnz .LBB7_497
	s_branch .LBB7_498
.LBB7_1011:
	s_movk_i32 s0, 0x80
	v_cmp_eq_u16_e32 vcc, s0, v66
	s_mov_b64 s[0:1], -1
                                        ; implicit-def: $sgpr7
	s_and_saveexec_b64 s[4:5], vcc
; %bb.1012:
	s_mov_b32 s7, 0x7f800001
	s_xor_b64 s[0:1], exec, -1
; %bb.1013:
	s_or_b64 exec, exec, s[4:5]
	s_and_b64 s[0:1], s[0:1], exec
                                        ; implicit-def: $vgpr66
	s_or_saveexec_b64 s[2:3], s[2:3]
	v_mov_b32_e32 v195, s7
	s_xor_b64 exec, exec, s[2:3]
	s_cbranch_execz .LBB7_500
.LBB7_1014:
	v_cmp_ne_u16_e32 vcc, 0, v66
	s_andn2_b64 s[0:1], s[0:1], exec
	s_and_b64 s[4:5], vcc, exec
	v_mov_b32_e32 v195, 0
	s_or_b64 s[0:1], s[0:1], s[4:5]
	s_or_b64 exec, exec, s[2:3]
	s_and_saveexec_b64 s[2:3], s[0:1]
	s_cbranch_execnz .LBB7_501
	s_branch .LBB7_502
.LBB7_1015:
	s_movk_i32 s0, 0x80
	v_cmp_eq_u16_e32 vcc, s0, v66
	s_mov_b64 s[0:1], -1
                                        ; implicit-def: $sgpr7
	s_and_saveexec_b64 s[4:5], vcc
; %bb.1016:
	s_mov_b32 s7, 0x7f800001
	s_xor_b64 s[0:1], exec, -1
; %bb.1017:
	s_or_b64 exec, exec, s[4:5]
	s_and_b64 s[0:1], s[0:1], exec
                                        ; implicit-def: $vgpr66
	s_or_saveexec_b64 s[2:3], s[2:3]
	v_mov_b32_e32 v196, s7
	s_xor_b64 exec, exec, s[2:3]
	s_cbranch_execz .LBB7_504
.LBB7_1018:
	v_cmp_ne_u16_e32 vcc, 0, v66
	s_andn2_b64 s[0:1], s[0:1], exec
	s_and_b64 s[4:5], vcc, exec
	v_mov_b32_e32 v196, 0
	s_or_b64 s[0:1], s[0:1], s[4:5]
	s_or_b64 exec, exec, s[2:3]
	s_and_saveexec_b64 s[2:3], s[0:1]
	s_cbranch_execnz .LBB7_505
	s_branch .LBB7_506
.LBB7_1019:
	s_movk_i32 s0, 0x80
	v_cmp_eq_u16_sdwa s[10:11], v69, s0 src0_sel:BYTE_0 src1_sel:DWORD
	s_mov_b64 s[0:1], -1
                                        ; implicit-def: $sgpr7
	s_and_saveexec_b64 s[4:5], s[10:11]
; %bb.1020:
	s_mov_b32 s7, 0x7f800001
	s_xor_b64 s[0:1], exec, -1
; %bb.1021:
	s_or_b64 exec, exec, s[4:5]
	s_and_b64 s[0:1], s[0:1], exec
	s_or_saveexec_b64 s[2:3], s[2:3]
	v_mov_b32_e32 v197, s7
	s_xor_b64 exec, exec, s[2:3]
	s_cbranch_execz .LBB7_508
.LBB7_1022:
	v_mov_b32_e32 v197, 0
	v_cmp_ne_u16_sdwa s[4:5], v69, v197 src0_sel:BYTE_0 src1_sel:DWORD
	s_andn2_b64 s[0:1], s[0:1], exec
	s_and_b64 s[4:5], s[4:5], exec
	s_or_b64 s[0:1], s[0:1], s[4:5]
	s_or_b64 exec, exec, s[2:3]
	s_and_saveexec_b64 s[2:3], s[0:1]
	s_cbranch_execnz .LBB7_509
	s_branch .LBB7_510
.LBB7_1023:
	s_movk_i32 s0, 0x80
	v_cmp_eq_u16_sdwa s[10:11], v69, s0 src0_sel:BYTE_1 src1_sel:DWORD
	s_mov_b64 s[0:1], -1
                                        ; implicit-def: $sgpr7
	s_and_saveexec_b64 s[4:5], s[10:11]
; %bb.1024:
	s_mov_b32 s7, 0x7f800001
	s_xor_b64 s[0:1], exec, -1
; %bb.1025:
	s_or_b64 exec, exec, s[4:5]
	s_and_b64 s[0:1], s[0:1], exec
	s_or_saveexec_b64 s[2:3], s[2:3]
	v_mov_b32_e32 v198, s7
	s_xor_b64 exec, exec, s[2:3]
	s_cbranch_execz .LBB7_512
.LBB7_1026:
	v_mov_b32_e32 v198, 0
	v_cmp_ne_u16_sdwa s[4:5], v69, v198 src0_sel:BYTE_1 src1_sel:DWORD
	s_andn2_b64 s[0:1], s[0:1], exec
	s_and_b64 s[4:5], s[4:5], exec
	s_or_b64 s[0:1], s[0:1], s[4:5]
	s_or_b64 exec, exec, s[2:3]
	s_and_saveexec_b64 s[2:3], s[0:1]
	s_cbranch_execnz .LBB7_513
	s_branch .LBB7_514
.LBB7_1027:
	s_movk_i32 s0, 0x80
	v_cmp_eq_u16_e32 vcc, s0, v66
	s_mov_b64 s[0:1], -1
                                        ; implicit-def: $sgpr7
	s_and_saveexec_b64 s[4:5], vcc
; %bb.1028:
	s_mov_b32 s7, 0x7f800001
	s_xor_b64 s[0:1], exec, -1
; %bb.1029:
	s_or_b64 exec, exec, s[4:5]
	s_and_b64 s[0:1], s[0:1], exec
                                        ; implicit-def: $vgpr66
	s_or_saveexec_b64 s[2:3], s[2:3]
	v_mov_b32_e32 v199, s7
	s_xor_b64 exec, exec, s[2:3]
	s_cbranch_execz .LBB7_516
.LBB7_1030:
	v_cmp_ne_u16_e32 vcc, 0, v66
	s_andn2_b64 s[0:1], s[0:1], exec
	s_and_b64 s[4:5], vcc, exec
	v_mov_b32_e32 v199, 0
	s_or_b64 s[0:1], s[0:1], s[4:5]
	s_or_b64 exec, exec, s[2:3]
	s_and_saveexec_b64 s[2:3], s[0:1]
	s_cbranch_execnz .LBB7_517
	s_branch .LBB7_518
.LBB7_1031:
	s_movk_i32 s0, 0x80
	v_cmp_eq_u16_e32 vcc, s0, v66
	s_mov_b64 s[0:1], -1
                                        ; implicit-def: $sgpr7
	s_and_saveexec_b64 s[4:5], vcc
; %bb.1032:
	s_mov_b32 s7, 0x7f800001
	s_xor_b64 s[0:1], exec, -1
; %bb.1033:
	s_or_b64 exec, exec, s[4:5]
	s_and_b64 s[0:1], s[0:1], exec
                                        ; implicit-def: $vgpr66
	s_or_saveexec_b64 s[2:3], s[2:3]
	v_mov_b32_e32 v200, s7
	s_xor_b64 exec, exec, s[2:3]
	s_cbranch_execz .LBB7_520
.LBB7_1034:
	v_cmp_ne_u16_e32 vcc, 0, v66
	s_andn2_b64 s[0:1], s[0:1], exec
	s_and_b64 s[4:5], vcc, exec
	v_mov_b32_e32 v200, 0
	s_or_b64 s[0:1], s[0:1], s[4:5]
	s_or_b64 exec, exec, s[2:3]
	s_and_saveexec_b64 s[2:3], s[0:1]
	s_cbranch_execnz .LBB7_521
	s_branch .LBB7_522
	.section	.rodata,"a",@progbits
	.p2align	6, 0x0
	.amdhsa_kernel _ZN2ck27kernel_gemm_xdl_cshuffle_v3INS_28GridwiseGemm_xdl_cshuffle_v3INS_13tensor_layout4gemm8RowMajorENS3_11ColumnMajorES4_DF16_NS_9f8_fnuz_tEfDF16_DF16_NS_16tensor_operation12element_wise11PassThroughES9_S9_LNS7_6device18GemmSpecializationE0ELi64ELi32ELi32ELi256ELi8ELi16ELi16ELi16ELi2ELi2ENS_8SequenceIJLi32ELi2ELi1EEEENSC_IJLi1ELi0ELi2EEEESE_Li2ELi8ELi8ELb0ELi0ENSC_IJLi16ELi4ELi1EEEESE_SE_Li2ELi16ELi16ELb0ELi0ELi1ELi1ENSC_IJLi1ELi16ELi1ELi4EEEELi4ELNS_26BlockGemmPipelineSchedulerE1ELNS_24BlockGemmPipelineVersionE0EDF16_DF16_Lb0ELb0ELb0ELi0ELb0EEELb0ELNS_25InMemoryDataOperationEnumE1ELi2ELNS_10TailNumberE10EEEvNT_8ArgumentE
		.amdhsa_group_segment_fixed_size 24576
		.amdhsa_private_segment_fixed_size 0
		.amdhsa_kernarg_size 112
		.amdhsa_user_sgpr_count 6
		.amdhsa_user_sgpr_private_segment_buffer 1
		.amdhsa_user_sgpr_dispatch_ptr 0
		.amdhsa_user_sgpr_queue_ptr 0
		.amdhsa_user_sgpr_kernarg_segment_ptr 1
		.amdhsa_user_sgpr_dispatch_id 0
		.amdhsa_user_sgpr_flat_scratch_init 0
		.amdhsa_user_sgpr_kernarg_preload_length 0
		.amdhsa_user_sgpr_kernarg_preload_offset 0
		.amdhsa_user_sgpr_private_segment_size 0
		.amdhsa_uses_dynamic_stack 0
		.amdhsa_system_sgpr_private_segment_wavefront_offset 0
		.amdhsa_system_sgpr_workgroup_id_x 1
		.amdhsa_system_sgpr_workgroup_id_y 0
		.amdhsa_system_sgpr_workgroup_id_z 1
		.amdhsa_system_sgpr_workgroup_info 0
		.amdhsa_system_vgpr_workitem_id 0
		.amdhsa_next_free_vgpr 201
		.amdhsa_next_free_sgpr 26
		.amdhsa_accum_offset 204
		.amdhsa_reserve_vcc 1
		.amdhsa_reserve_flat_scratch 0
		.amdhsa_float_round_mode_32 0
		.amdhsa_float_round_mode_16_64 0
		.amdhsa_float_denorm_mode_32 3
		.amdhsa_float_denorm_mode_16_64 3
		.amdhsa_dx10_clamp 1
		.amdhsa_ieee_mode 1
		.amdhsa_fp16_overflow 0
		.amdhsa_tg_split 0
		.amdhsa_exception_fp_ieee_invalid_op 0
		.amdhsa_exception_fp_denorm_src 0
		.amdhsa_exception_fp_ieee_div_zero 0
		.amdhsa_exception_fp_ieee_overflow 0
		.amdhsa_exception_fp_ieee_underflow 0
		.amdhsa_exception_fp_ieee_inexact 0
		.amdhsa_exception_int_div_zero 0
	.end_amdhsa_kernel
	.section	.text._ZN2ck27kernel_gemm_xdl_cshuffle_v3INS_28GridwiseGemm_xdl_cshuffle_v3INS_13tensor_layout4gemm8RowMajorENS3_11ColumnMajorES4_DF16_NS_9f8_fnuz_tEfDF16_DF16_NS_16tensor_operation12element_wise11PassThroughES9_S9_LNS7_6device18GemmSpecializationE0ELi64ELi32ELi32ELi256ELi8ELi16ELi16ELi16ELi2ELi2ENS_8SequenceIJLi32ELi2ELi1EEEENSC_IJLi1ELi0ELi2EEEESE_Li2ELi8ELi8ELb0ELi0ENSC_IJLi16ELi4ELi1EEEESE_SE_Li2ELi16ELi16ELb0ELi0ELi1ELi1ENSC_IJLi1ELi16ELi1ELi4EEEELi4ELNS_26BlockGemmPipelineSchedulerE1ELNS_24BlockGemmPipelineVersionE0EDF16_DF16_Lb0ELb0ELb0ELi0ELb0EEELb0ELNS_25InMemoryDataOperationEnumE1ELi2ELNS_10TailNumberE10EEEvNT_8ArgumentE,"axG",@progbits,_ZN2ck27kernel_gemm_xdl_cshuffle_v3INS_28GridwiseGemm_xdl_cshuffle_v3INS_13tensor_layout4gemm8RowMajorENS3_11ColumnMajorES4_DF16_NS_9f8_fnuz_tEfDF16_DF16_NS_16tensor_operation12element_wise11PassThroughES9_S9_LNS7_6device18GemmSpecializationE0ELi64ELi32ELi32ELi256ELi8ELi16ELi16ELi16ELi2ELi2ENS_8SequenceIJLi32ELi2ELi1EEEENSC_IJLi1ELi0ELi2EEEESE_Li2ELi8ELi8ELb0ELi0ENSC_IJLi16ELi4ELi1EEEESE_SE_Li2ELi16ELi16ELb0ELi0ELi1ELi1ENSC_IJLi1ELi16ELi1ELi4EEEELi4ELNS_26BlockGemmPipelineSchedulerE1ELNS_24BlockGemmPipelineVersionE0EDF16_DF16_Lb0ELb0ELb0ELi0ELb0EEELb0ELNS_25InMemoryDataOperationEnumE1ELi2ELNS_10TailNumberE10EEEvNT_8ArgumentE,comdat
.Lfunc_end7:
	.size	_ZN2ck27kernel_gemm_xdl_cshuffle_v3INS_28GridwiseGemm_xdl_cshuffle_v3INS_13tensor_layout4gemm8RowMajorENS3_11ColumnMajorES4_DF16_NS_9f8_fnuz_tEfDF16_DF16_NS_16tensor_operation12element_wise11PassThroughES9_S9_LNS7_6device18GemmSpecializationE0ELi64ELi32ELi32ELi256ELi8ELi16ELi16ELi16ELi2ELi2ENS_8SequenceIJLi32ELi2ELi1EEEENSC_IJLi1ELi0ELi2EEEESE_Li2ELi8ELi8ELb0ELi0ENSC_IJLi16ELi4ELi1EEEESE_SE_Li2ELi16ELi16ELb0ELi0ELi1ELi1ENSC_IJLi1ELi16ELi1ELi4EEEELi4ELNS_26BlockGemmPipelineSchedulerE1ELNS_24BlockGemmPipelineVersionE0EDF16_DF16_Lb0ELb0ELb0ELi0ELb0EEELb0ELNS_25InMemoryDataOperationEnumE1ELi2ELNS_10TailNumberE10EEEvNT_8ArgumentE, .Lfunc_end7-_ZN2ck27kernel_gemm_xdl_cshuffle_v3INS_28GridwiseGemm_xdl_cshuffle_v3INS_13tensor_layout4gemm8RowMajorENS3_11ColumnMajorES4_DF16_NS_9f8_fnuz_tEfDF16_DF16_NS_16tensor_operation12element_wise11PassThroughES9_S9_LNS7_6device18GemmSpecializationE0ELi64ELi32ELi32ELi256ELi8ELi16ELi16ELi16ELi2ELi2ENS_8SequenceIJLi32ELi2ELi1EEEENSC_IJLi1ELi0ELi2EEEESE_Li2ELi8ELi8ELb0ELi0ENSC_IJLi16ELi4ELi1EEEESE_SE_Li2ELi16ELi16ELb0ELi0ELi1ELi1ENSC_IJLi1ELi16ELi1ELi4EEEELi4ELNS_26BlockGemmPipelineSchedulerE1ELNS_24BlockGemmPipelineVersionE0EDF16_DF16_Lb0ELb0ELb0ELi0ELb0EEELb0ELNS_25InMemoryDataOperationEnumE1ELi2ELNS_10TailNumberE10EEEvNT_8ArgumentE
                                        ; -- End function
	.section	.AMDGPU.csdata,"",@progbits
; Kernel info:
; codeLenInByte = 36816
; NumSgprs: 30
; NumVgprs: 201
; NumAgprs: 0
; TotalNumVgprs: 201
; ScratchSize: 0
; MemoryBound: 0
; FloatMode: 240
; IeeeMode: 1
; LDSByteSize: 24576 bytes/workgroup (compile time only)
; SGPRBlocks: 3
; VGPRBlocks: 25
; NumSGPRsForWavesPerEU: 30
; NumVGPRsForWavesPerEU: 201
; AccumOffset: 204
; Occupancy: 1
; WaveLimiterHint : 0
; COMPUTE_PGM_RSRC2:SCRATCH_EN: 0
; COMPUTE_PGM_RSRC2:USER_SGPR: 6
; COMPUTE_PGM_RSRC2:TRAP_HANDLER: 0
; COMPUTE_PGM_RSRC2:TGID_X_EN: 1
; COMPUTE_PGM_RSRC2:TGID_Y_EN: 0
; COMPUTE_PGM_RSRC2:TGID_Z_EN: 1
; COMPUTE_PGM_RSRC2:TIDIG_COMP_CNT: 0
; COMPUTE_PGM_RSRC3_GFX90A:ACCUM_OFFSET: 50
; COMPUTE_PGM_RSRC3_GFX90A:TG_SPLIT: 0
	.section	.text._ZN2ck27kernel_gemm_xdl_cshuffle_v3INS_28GridwiseGemm_xdl_cshuffle_v3INS_13tensor_layout4gemm8RowMajorENS3_11ColumnMajorES4_DF16_NS_9f8_fnuz_tEfDF16_DF16_NS_16tensor_operation12element_wise11PassThroughES9_S9_LNS7_6device18GemmSpecializationE0ELi64ELi32ELi32ELi256ELi8ELi16ELi16ELi16ELi2ELi2ENS_8SequenceIJLi32ELi2ELi1EEEENSC_IJLi1ELi0ELi2EEEESE_Li2ELi8ELi8ELb0ELi0ENSC_IJLi16ELi4ELi1EEEESE_SE_Li2ELi16ELi16ELb0ELi0ELi1ELi1ENSC_IJLi1ELi16ELi1ELi4EEEELi4ELNS_26BlockGemmPipelineSchedulerE1ELNS_24BlockGemmPipelineVersionE0EDF16_DF16_Lb0ELb0ELb0ELi0ELb0EEELb0ELNS_25InMemoryDataOperationEnumE0ELi2ELNS_10TailNumberE10EEEvNT_8ArgumentE,"axG",@progbits,_ZN2ck27kernel_gemm_xdl_cshuffle_v3INS_28GridwiseGemm_xdl_cshuffle_v3INS_13tensor_layout4gemm8RowMajorENS3_11ColumnMajorES4_DF16_NS_9f8_fnuz_tEfDF16_DF16_NS_16tensor_operation12element_wise11PassThroughES9_S9_LNS7_6device18GemmSpecializationE0ELi64ELi32ELi32ELi256ELi8ELi16ELi16ELi16ELi2ELi2ENS_8SequenceIJLi32ELi2ELi1EEEENSC_IJLi1ELi0ELi2EEEESE_Li2ELi8ELi8ELb0ELi0ENSC_IJLi16ELi4ELi1EEEESE_SE_Li2ELi16ELi16ELb0ELi0ELi1ELi1ENSC_IJLi1ELi16ELi1ELi4EEEELi4ELNS_26BlockGemmPipelineSchedulerE1ELNS_24BlockGemmPipelineVersionE0EDF16_DF16_Lb0ELb0ELb0ELi0ELb0EEELb0ELNS_25InMemoryDataOperationEnumE0ELi2ELNS_10TailNumberE10EEEvNT_8ArgumentE,comdat
	.protected	_ZN2ck27kernel_gemm_xdl_cshuffle_v3INS_28GridwiseGemm_xdl_cshuffle_v3INS_13tensor_layout4gemm8RowMajorENS3_11ColumnMajorES4_DF16_NS_9f8_fnuz_tEfDF16_DF16_NS_16tensor_operation12element_wise11PassThroughES9_S9_LNS7_6device18GemmSpecializationE0ELi64ELi32ELi32ELi256ELi8ELi16ELi16ELi16ELi2ELi2ENS_8SequenceIJLi32ELi2ELi1EEEENSC_IJLi1ELi0ELi2EEEESE_Li2ELi8ELi8ELb0ELi0ENSC_IJLi16ELi4ELi1EEEESE_SE_Li2ELi16ELi16ELb0ELi0ELi1ELi1ENSC_IJLi1ELi16ELi1ELi4EEEELi4ELNS_26BlockGemmPipelineSchedulerE1ELNS_24BlockGemmPipelineVersionE0EDF16_DF16_Lb0ELb0ELb0ELi0ELb0EEELb0ELNS_25InMemoryDataOperationEnumE0ELi2ELNS_10TailNumberE10EEEvNT_8ArgumentE ; -- Begin function _ZN2ck27kernel_gemm_xdl_cshuffle_v3INS_28GridwiseGemm_xdl_cshuffle_v3INS_13tensor_layout4gemm8RowMajorENS3_11ColumnMajorES4_DF16_NS_9f8_fnuz_tEfDF16_DF16_NS_16tensor_operation12element_wise11PassThroughES9_S9_LNS7_6device18GemmSpecializationE0ELi64ELi32ELi32ELi256ELi8ELi16ELi16ELi16ELi2ELi2ENS_8SequenceIJLi32ELi2ELi1EEEENSC_IJLi1ELi0ELi2EEEESE_Li2ELi8ELi8ELb0ELi0ENSC_IJLi16ELi4ELi1EEEESE_SE_Li2ELi16ELi16ELb0ELi0ELi1ELi1ENSC_IJLi1ELi16ELi1ELi4EEEELi4ELNS_26BlockGemmPipelineSchedulerE1ELNS_24BlockGemmPipelineVersionE0EDF16_DF16_Lb0ELb0ELb0ELi0ELb0EEELb0ELNS_25InMemoryDataOperationEnumE0ELi2ELNS_10TailNumberE10EEEvNT_8ArgumentE
	.globl	_ZN2ck27kernel_gemm_xdl_cshuffle_v3INS_28GridwiseGemm_xdl_cshuffle_v3INS_13tensor_layout4gemm8RowMajorENS3_11ColumnMajorES4_DF16_NS_9f8_fnuz_tEfDF16_DF16_NS_16tensor_operation12element_wise11PassThroughES9_S9_LNS7_6device18GemmSpecializationE0ELi64ELi32ELi32ELi256ELi8ELi16ELi16ELi16ELi2ELi2ENS_8SequenceIJLi32ELi2ELi1EEEENSC_IJLi1ELi0ELi2EEEESE_Li2ELi8ELi8ELb0ELi0ENSC_IJLi16ELi4ELi1EEEESE_SE_Li2ELi16ELi16ELb0ELi0ELi1ELi1ENSC_IJLi1ELi16ELi1ELi4EEEELi4ELNS_26BlockGemmPipelineSchedulerE1ELNS_24BlockGemmPipelineVersionE0EDF16_DF16_Lb0ELb0ELb0ELi0ELb0EEELb0ELNS_25InMemoryDataOperationEnumE0ELi2ELNS_10TailNumberE10EEEvNT_8ArgumentE
	.p2align	8
	.type	_ZN2ck27kernel_gemm_xdl_cshuffle_v3INS_28GridwiseGemm_xdl_cshuffle_v3INS_13tensor_layout4gemm8RowMajorENS3_11ColumnMajorES4_DF16_NS_9f8_fnuz_tEfDF16_DF16_NS_16tensor_operation12element_wise11PassThroughES9_S9_LNS7_6device18GemmSpecializationE0ELi64ELi32ELi32ELi256ELi8ELi16ELi16ELi16ELi2ELi2ENS_8SequenceIJLi32ELi2ELi1EEEENSC_IJLi1ELi0ELi2EEEESE_Li2ELi8ELi8ELb0ELi0ENSC_IJLi16ELi4ELi1EEEESE_SE_Li2ELi16ELi16ELb0ELi0ELi1ELi1ENSC_IJLi1ELi16ELi1ELi4EEEELi4ELNS_26BlockGemmPipelineSchedulerE1ELNS_24BlockGemmPipelineVersionE0EDF16_DF16_Lb0ELb0ELb0ELi0ELb0EEELb0ELNS_25InMemoryDataOperationEnumE0ELi2ELNS_10TailNumberE10EEEvNT_8ArgumentE,@function
_ZN2ck27kernel_gemm_xdl_cshuffle_v3INS_28GridwiseGemm_xdl_cshuffle_v3INS_13tensor_layout4gemm8RowMajorENS3_11ColumnMajorES4_DF16_NS_9f8_fnuz_tEfDF16_DF16_NS_16tensor_operation12element_wise11PassThroughES9_S9_LNS7_6device18GemmSpecializationE0ELi64ELi32ELi32ELi256ELi8ELi16ELi16ELi16ELi2ELi2ENS_8SequenceIJLi32ELi2ELi1EEEENSC_IJLi1ELi0ELi2EEEESE_Li2ELi8ELi8ELb0ELi0ENSC_IJLi16ELi4ELi1EEEESE_SE_Li2ELi16ELi16ELb0ELi0ELi1ELi1ENSC_IJLi1ELi16ELi1ELi4EEEELi4ELNS_26BlockGemmPipelineSchedulerE1ELNS_24BlockGemmPipelineVersionE0EDF16_DF16_Lb0ELb0ELb0ELi0ELb0EEELb0ELNS_25InMemoryDataOperationEnumE0ELi2ELNS_10TailNumberE10EEEvNT_8ArgumentE: ; @_ZN2ck27kernel_gemm_xdl_cshuffle_v3INS_28GridwiseGemm_xdl_cshuffle_v3INS_13tensor_layout4gemm8RowMajorENS3_11ColumnMajorES4_DF16_NS_9f8_fnuz_tEfDF16_DF16_NS_16tensor_operation12element_wise11PassThroughES9_S9_LNS7_6device18GemmSpecializationE0ELi64ELi32ELi32ELi256ELi8ELi16ELi16ELi16ELi2ELi2ENS_8SequenceIJLi32ELi2ELi1EEEENSC_IJLi1ELi0ELi2EEEESE_Li2ELi8ELi8ELb0ELi0ENSC_IJLi16ELi4ELi1EEEESE_SE_Li2ELi16ELi16ELb0ELi0ELi1ELi1ENSC_IJLi1ELi16ELi1ELi4EEEELi4ELNS_26BlockGemmPipelineSchedulerE1ELNS_24BlockGemmPipelineVersionE0EDF16_DF16_Lb0ELb0ELb0ELi0ELb0EEELb0ELNS_25InMemoryDataOperationEnumE0ELi2ELNS_10TailNumberE10EEEvNT_8ArgumentE
; %bb.0:
	s_load_dwordx8 s[8:15], s[4:5], 0x10
	s_waitcnt lgkmcnt(0)
	s_load_dword s15, s[4:5], 0x68
	s_load_dwordx2 s[20:21], s[4:5], 0x60
	s_load_dwordx4 s[0:3], s[4:5], 0x50
	s_mov_b32 s22, 0
	s_cmp_gt_i32 s14, 1
	s_cselect_b64 s[16:17], -1, 0
	s_waitcnt lgkmcnt(0)
	s_bitcmp1_b32 s15, 0
	s_cselect_b64 s[18:19], -1, 0
	s_and_b64 s[16:17], s[16:17], s[18:19]
	s_mov_b32 s15, 0
	s_andn2_b64 vcc, exec, s[16:17]
	s_cbranch_vccnz .LBB8_2
; %bb.1:
	s_mul_i32 s16, s8, s7
	s_mul_i32 s22, s16, s9
.LBB8_2:
	s_load_dword s18, s[4:5], 0x34
	s_add_i32 s4, s8, -1
	s_cmp_lt_u32 s4, 32
	s_cbranch_scc1 .LBB8_10
; %bb.3:
	s_add_i32 s4, s9, -1
	s_cmp_lt_u32 s4, 32
	s_mov_b32 s4, 0
	s_cbranch_scc1 .LBB8_9
; %bb.4:
	s_add_i32 s4, s8, 31
	s_ashr_i32 s5, s4, 31
	s_lshr_b32 s5, s5, 27
	s_add_i32 s4, s4, s5
	s_ashr_i32 s16, s4, 5
	s_add_i32 s4, s9, 31
	s_ashr_i32 s5, s4, 31
	s_lshr_b32 s5, s5, 27
	s_add_i32 s4, s4, s5
	s_ashr_i32 s15, s4, 5
	s_mul_i32 s4, s15, s16
	s_add_i32 s5, s4, 7
	s_ashr_i32 s17, s5, 31
	s_lshr_b32 s17, s17, 29
	s_add_i32 s5, s5, s17
	s_ashr_i32 s17, s5, 3
	s_and_b32 s5, s5, -8
	s_sub_i32 s19, s4, s5
	s_ashr_i32 s4, s6, 31
	s_lshr_b32 s4, s4, 29
	s_add_i32 s24, s6, s4
	s_and_b32 s4, s24, -8
	s_add_i32 s19, s19, 8
	s_sub_i32 s23, s6, s4
	s_cmp_gt_i32 s23, s19
	s_cbranch_scc1 .LBB8_6
; %bb.5:
	s_mul_i32 s6, s17, s23
	s_ashr_i32 s4, s24, 3
	s_cbranch_execz .LBB8_7
	s_branch .LBB8_8
.LBB8_6:
                                        ; implicit-def: $sgpr6
	s_ashr_i32 s4, s24, 3
.LBB8_7:
	s_add_i32 s5, s17, -1
	s_mul_i32 s5, s5, s23
	s_add_i32 s6, s19, s5
.LBB8_8:
	s_abs_i32 s5, s15
	v_cvt_f32_u32_e32 v1, s5
	s_sub_i32 s19, 0, s5
	s_add_i32 s4, s6, s4
	s_abs_i32 s17, s4
	v_rcp_iflag_f32_e32 v1, v1
	s_xor_b32 s6, s4, s15
	s_ashr_i32 s6, s6, 31
	v_mul_f32_e32 v1, 0x4f7ffffe, v1
	v_cvt_u32_f32_e32 v1, v1
	v_readfirstlane_b32 s23, v1
	s_mul_i32 s19, s19, s23
	s_mul_hi_u32 s19, s23, s19
	s_add_i32 s23, s23, s19
	s_mul_hi_u32 s19, s17, s23
	s_mul_i32 s23, s19, s5
	s_sub_i32 s17, s17, s23
	s_add_i32 s24, s19, 1
	s_sub_i32 s23, s17, s5
	s_cmp_ge_u32 s17, s5
	s_cselect_b32 s19, s24, s19
	s_cselect_b32 s17, s23, s17
	s_add_i32 s23, s19, 1
	s_cmp_ge_u32 s17, s5
	s_cselect_b32 s5, s23, s19
	s_xor_b32 s5, s5, s6
	s_lshr_b32 s17, s16, 30
	s_sub_i32 s5, s5, s6
	s_add_i32 s17, s16, s17
	s_mul_i32 s6, s5, s15
	s_sub_i32 s4, s4, s6
	s_and_b32 s6, s17, -4
	s_sub_i32 s16, s16, s6
	s_cmp_ge_i32 s5, s6
	s_cselect_b32 s6, s16, 4
	s_abs_i32 s17, s6
	v_cvt_f32_u32_e32 v1, s17
	s_ashr_i32 s16, s5, 31
	s_lshr_b32 s16, s16, 30
	s_add_i32 s16, s5, s16
	v_rcp_iflag_f32_e32 v1, v1
	s_and_b32 s16, s16, -4
	s_sub_i32 s16, s5, s16
	s_sub_i32 s23, 0, s17
	v_mul_f32_e32 v1, 0x4f7ffffe, v1
	v_cvt_u32_f32_e32 v1, v1
	s_mul_i32 s15, s16, s15
	s_add_i32 s15, s15, s4
	s_abs_i32 s19, s15
	v_readfirstlane_b32 s24, v1
	s_mul_i32 s23, s23, s24
	s_mul_hi_u32 s23, s24, s23
	s_add_i32 s24, s24, s23
	s_mul_hi_u32 s23, s19, s24
	s_mul_i32 s24, s23, s17
	s_xor_b32 s4, s15, s6
	s_sub_i32 s19, s19, s24
	s_ashr_i32 s4, s4, 31
	s_add_i32 s24, s23, 1
	s_sub_i32 s25, s19, s17
	s_cmp_ge_u32 s19, s17
	s_cselect_b32 s23, s24, s23
	s_cselect_b32 s19, s25, s19
	s_add_i32 s24, s23, 1
	s_cmp_ge_u32 s19, s17
	s_cselect_b32 s17, s24, s23
	s_xor_b32 s17, s17, s4
	s_sub_i32 s4, s17, s4
	s_mul_i32 s6, s4, s6
	s_sub_i32 s6, s15, s6
	s_add_i32 s6, s6, s5
	s_sub_i32 s6, s6, s16
.LBB8_9:
	s_mov_b32 s15, s6
	s_mov_b32 s6, s4
.LBB8_10:
	s_waitcnt lgkmcnt(0)
	s_mul_i32 s4, s18, s7
	s_ashr_i32 s5, s4, 31
	s_lshl_b64 s[16:17], s[4:5], 1
	s_add_u32 s16, s0, s16
	s_addc_u32 s17, s1, s17
	s_add_u32 s0, s2, s4
	s_addc_u32 s1, s3, s5
	s_add_u32 s24, 0, 0
	s_addc_u32 s25, s8, -1
	s_add_u32 s3, 0, 0
	s_addc_u32 s3, s9, -1
	s_add_i32 s4, s14, -1
	s_mul_i32 s5, s4, s18
	s_sub_i32 s5, s10, s5
	s_cmp_lt_u32 s7, s4
	v_lshrrev_b32_e32 v10, 1, v0
	s_cselect_b32 s4, s18, s5
	s_lshl_b32 s5, s15, 5
	v_and_b32_e32 v99, 16, v10
	v_add_u32_e32 v1, s5, v99
	s_mul_i32 s2, s25, s11
	v_and_b32_e32 v98, 31, v0
	v_mul_lo_u32 v1, v1, s11
	v_lshl_add_u32 v1, v98, 3, v1
	s_add_i32 s2, s4, s2
	s_lshl_b32 s18, s2, 1
	s_mov_b32 s19, 0x20000
	v_lshlrev_b32_e32 v2, 1, v1
	buffer_load_dwordx4 v[2:5], v2, s[16:19], 0 offen
	v_add_u32_e32 v11, s11, v1
	v_xor_b32_e32 v100, v99, v98
	v_lshlrev_b32_e32 v6, 8, v99
	v_lshlrev_b32_e32 v1, 1, v11
	v_lshl_or_b32 v101, v100, 3, v6
	buffer_load_dwordx4 v[6:9], v1, s[16:19], 0 offen
	v_and_b32_e32 v1, 15, v0
	v_and_b32_e32 v12, 24, v10
	;; [unrolled: 1-line block ×3, first 2 shown]
	s_lshl_b32 s6, s6, 5
	v_xor_b32_e32 v103, v102, v1
	v_lshlrev_b32_e32 v10, 8, v12
	v_add_u32_e32 v13, s6, v12
	v_lshl_or_b32 v104, v103, 4, v10
	v_add_u32_e32 v10, s11, v11
	v_mul_lo_u32 v13, v13, s12
	v_lshlrev_b32_e32 v11, 1, v10
	v_lshl_add_u32 v74, v1, 4, v13
	v_add_u32_e32 v18, s11, v10
	buffer_load_dwordx4 v[10:13], v11, s[16:19], 0 offen
	v_lshlrev_b32_e32 v14, 1, v18
	buffer_load_dwordx4 v[14:17], v14, s[16:19], 0 offen
	v_add_u32_e32 v18, s11, v18
	v_lshlrev_b32_e32 v26, 1, v18
	v_add_u32_e32 v27, s11, v18
	v_lshlrev_b32_e32 v28, 1, v27
	buffer_load_dwordx4 v[18:21], v26, s[16:19], 0 offen
	buffer_load_dwordx4 v[22:25], v28, s[16:19], 0 offen
	v_add_u32_e32 v26, s11, v27
	v_lshlrev_b32_e32 v34, 1, v26
	v_add_u32_e32 v35, s11, v26
	v_lshlrev_b32_e32 v36, 1, v35
	buffer_load_dwordx4 v[26:29], v34, s[16:19], 0 offen
	;; [unrolled: 6-line block ×5, first 2 shown]
	buffer_load_dwordx4 v[54:57], v60, s[16:19], 0 offen
	v_add_u32_e32 v58, s11, v59
	s_mul_i32 s3, s3, s12
	v_lshlrev_b32_e32 v66, 1, v58
	v_add_lshl_u32 v67, v58, s11, 1
	buffer_load_dwordx4 v[58:61], v66, s[16:19], 0 offen
	buffer_load_dwordx4 v[62:65], v67, s[16:19], 0 offen
	s_add_i32 s2, s4, s3
	s_mov_b32 s3, s19
	v_add_u32_e32 v75, s12, v74
	buffer_load_dwordx4 v[66:69], v74, s[0:3], 0 offen
	buffer_load_dwordx4 v[70:73], v75, s[0:3], 0 offen
	v_add_u32_e32 v82, s12, v75
	v_add_u32_e32 v83, s12, v82
	buffer_load_dwordx4 v[74:77], v82, s[0:3], 0 offen
	buffer_load_dwordx4 v[78:81], v83, s[0:3], 0 offen
	v_add_u32_e32 v90, s12, v83
	v_add_u32_e32 v91, s12, v90
	;; [unrolled: 1-line block ×3, first 2 shown]
	buffer_load_dwordx4 v[82:85], v90, s[0:3], 0 offen
	buffer_load_dwordx4 v[86:89], v91, s[0:3], 0 offen
	v_add_u32_e32 v106, s12, v105
	buffer_load_dwordx4 v[90:93], v105, s[0:3], 0 offen
	buffer_load_dwordx4 v[94:97], v106, s[0:3], 0 offen
	v_lshlrev_b32_e32 v105, 1, v101
	s_movk_i32 s0, 0x200
                                        ; implicit-def: $sgpr7
	s_waitcnt vmcnt(23)
	ds_write_b128 v105, v[2:5]
	v_or_b32_e32 v2, 1, v99
	v_xor_b32_e32 v2, v2, v98
	v_sub_u32_e32 v3, v2, v100
	v_lshlrev_b32_e32 v4, 3, v3
	v_or_b32_e32 v5, 2, v99
	v_lshl_add_u32 v3, v3, 4, v105
	v_xor_b32_e32 v5, v5, v98
	s_waitcnt vmcnt(22)
	ds_write_b128 v3, v[6:9] offset:512
	v_or_b32_e32 v6, 3, v99
	v_or_b32_e32 v8, 4, v99
	v_sub_u32_e32 v2, v5, v2
	v_xor_b32_e32 v6, v6, v98
	v_xor_b32_e32 v8, v8, v98
	v_lshlrev_b32_e32 v100, 3, v2
	v_sub_u32_e32 v5, v6, v5
	v_sub_u32_e32 v6, v8, v6
	v_add3_u32 v4, v4, v101, v100
	v_lshlrev_b32_e32 v7, 3, v5
	v_lshlrev_b32_e32 v9, 3, v6
	;; [unrolled: 1-line block ×3, first 2 shown]
	v_add3_u32 v4, v4, v7, v9
	v_add3_u32 v2, v3, s0, v2
	v_or_b32_e32 v3, 5, v99
	v_or_b32_e32 v9, 6, v99
	v_xor_b32_e32 v3, v3, v98
	v_xor_b32_e32 v9, v9, v98
	v_sub_u32_e32 v7, v3, v8
	v_sub_u32_e32 v3, v9, v3
	s_waitcnt vmcnt(21)
	ds_write_b128 v2, v[10:13] offset:512
	v_lshlrev_b32_e32 v8, 3, v7
	v_lshlrev_b32_e32 v10, 3, v3
	;; [unrolled: 1-line block ×3, first 2 shown]
	v_add3_u32 v4, v4, v8, v10
	v_add3_u32 v2, v2, s0, v5
	v_or_b32_e32 v5, 7, v99
	v_or_b32_e32 v10, 8, v99
	v_xor_b32_e32 v5, v5, v98
	v_xor_b32_e32 v10, v10, v98
	v_sub_u32_e32 v8, v5, v9
	v_sub_u32_e32 v5, v10, v5
	v_lshlrev_b32_e32 v9, 3, v8
	v_lshlrev_b32_e32 v11, 3, v5
	;; [unrolled: 1-line block ×3, first 2 shown]
	s_waitcnt vmcnt(20)
	ds_write_b128 v2, v[14:17] offset:512
	v_add3_u32 v4, v4, v9, v11
	v_add3_u32 v2, v2, s0, v6
	v_or_b32_e32 v6, 9, v99
	v_or_b32_e32 v11, 10, v99
	v_xor_b32_e32 v6, v6, v98
	v_xor_b32_e32 v11, v11, v98
	v_sub_u32_e32 v9, v6, v10
	v_sub_u32_e32 v6, v11, v6
	v_lshlrev_b32_e32 v7, 4, v7
	s_waitcnt vmcnt(19)
	ds_write_b128 v2, v[18:21] offset:512
	v_lshlrev_b32_e32 v10, 3, v9
	v_lshlrev_b32_e32 v12, 3, v6
	v_add3_u32 v2, v2, s0, v7
	v_lshlrev_b32_e32 v3, 4, v3
	v_add3_u32 v4, v4, v10, v12
	s_waitcnt vmcnt(18)
	ds_write_b128 v2, v[22:25] offset:512
	v_or_b32_e32 v7, 11, v99
	v_or_b32_e32 v12, 12, v99
	v_add3_u32 v2, v2, s0, v3
	v_lshlrev_b32_e32 v8, 4, v8
	v_xor_b32_e32 v7, v7, v98
	v_xor_b32_e32 v12, v12, v98
	s_waitcnt vmcnt(17)
	ds_write_b128 v2, v[26:29] offset:512
	v_add3_u32 v2, v2, s0, v8
	v_lshlrev_b32_e32 v5, 4, v5
	v_sub_u32_e32 v10, v7, v11
	v_sub_u32_e32 v7, v12, v7
	s_waitcnt vmcnt(16)
	ds_write_b128 v2, v[30:33] offset:512
	v_add3_u32 v2, v2, s0, v5
	v_lshlrev_b32_e32 v5, 4, v9
	v_lshlrev_b32_e32 v11, 3, v10
	v_lshlrev_b32_e32 v13, 3, v7
	v_or_b32_e32 v3, 13, v99
	s_waitcnt vmcnt(15)
	ds_write_b128 v2, v[34:37] offset:512
	v_add3_u32 v2, v2, s0, v5
	v_lshlrev_b32_e32 v5, 4, v6
	v_add3_u32 v4, v4, v11, v13
	v_xor_b32_e32 v3, v3, v98
	v_or_b32_e32 v13, 14, v99
	s_waitcnt vmcnt(14)
	ds_write_b128 v2, v[38:41] offset:512
	v_add3_u32 v2, v2, s0, v5
	v_lshlrev_b32_e32 v5, 4, v10
	v_sub_u32_e32 v11, v3, v12
	v_xor_b32_e32 v13, v13, v98
	v_or_b32_e32 v8, 15, v99
	s_waitcnt vmcnt(13)
	ds_write_b128 v2, v[42:45] offset:512
	v_add3_u32 v2, v2, s0, v5
	v_lshlrev_b32_e32 v5, 4, v7
	v_sub_u32_e32 v3, v13, v3
	v_xor_b32_e32 v8, v8, v98
	s_waitcnt vmcnt(12)
	ds_write_b128 v2, v[46:49] offset:512
	v_add3_u32 v2, v2, s0, v5
	v_lshlrev_b32_e32 v5, 4, v11
	v_lshlrev_b32_e32 v12, 3, v11
	;; [unrolled: 1-line block ×3, first 2 shown]
	v_sub_u32_e32 v8, v8, v13
	s_waitcnt vmcnt(11)
	ds_write_b128 v2, v[50:53] offset:512
	v_add3_u32 v2, v2, s0, v5
	v_lshlrev_b32_e32 v3, 4, v3
	v_add3_u32 v4, v4, v12, v14
	v_lshlrev_b32_e32 v8, 4, v8
	s_waitcnt vmcnt(10)
	ds_write_b128 v2, v[54:57] offset:512
	v_add3_u32 v2, v2, s0, v3
	v_lshl_add_u32 v4, v4, 1, v8
	s_waitcnt vmcnt(9)
	ds_write_b128 v2, v[58:61] offset:512
	s_waitcnt vmcnt(8)
	ds_write_b128 v4, v[62:65] offset:7680
	;; [unrolled: 2-line block ×3, first 2 shown]
	v_or_b32_e32 v2, 1, v102
	v_xor_b32_e32 v2, v2, v1
	v_or_b32_e32 v4, 2, v102
	v_sub_u32_e32 v3, v2, v103
	v_xor_b32_e32 v4, v4, v1
	v_lshl_add_u32 v3, v3, 4, v104
	v_sub_u32_e32 v2, v4, v2
	v_lshl_add_u32 v2, v2, 4, v3
	s_waitcnt vmcnt(6)
	ds_write_b128 v3, v[70:73] offset:16640
	v_or_b32_e32 v3, 3, v102
	v_xor_b32_e32 v3, v3, v1
	v_sub_u32_e32 v4, v3, v4
	v_or_b32_e32 v5, 4, v102
	v_lshl_add_u32 v4, v4, 4, v2
	v_xor_b32_e32 v5, v5, v1
	s_waitcnt vmcnt(5)
	ds_write_b128 v2, v[74:77] offset:16896
	v_or_b32_e32 v2, 5, v102
	v_sub_u32_e32 v3, v5, v3
	v_xor_b32_e32 v2, v2, v1
	v_or_b32_e32 v6, 6, v102
	v_lshl_add_u32 v3, v3, 4, v4
	v_sub_u32_e32 v5, v2, v5
	v_xor_b32_e32 v6, v6, v1
	s_waitcnt vmcnt(4)
	ds_write_b128 v4, v[78:81] offset:17152
	v_or_b32_e32 v4, 7, v102
	v_lshlrev_b32_e32 v98, 2, v0
	v_lshl_add_u32 v5, v5, 4, v3
	v_sub_u32_e32 v2, v6, v2
	v_xor_b32_e32 v4, v4, v1
	v_and_b32_e32 v99, 0xc0, v98
	v_lshl_add_u32 v2, v2, 4, v5
	v_sub_u32_e32 v4, v4, v6
	v_lshrrev_b32_e32 v10, 3, v99
	v_lshl_add_u32 v4, v4, 4, v2
	s_waitcnt vmcnt(3)
	ds_write_b128 v3, v[82:85] offset:17408
	s_waitcnt vmcnt(2)
	ds_write_b128 v5, v[86:89] offset:17664
	;; [unrolled: 2-line block ×4, first 2 shown]
	v_lshrrev_b32_e32 v2, 4, v99
	v_or_b32_e32 v15, 1, v10
	v_xor_b32_e32 v11, v10, v1
	v_xor_b32_e32 v12, v2, v1
	v_lshlrev_b32_e32 v2, 9, v1
	v_xor_b32_e32 v3, v15, v1
	v_or_b32_e32 v16, 16, v99
	v_lshl_or_b32 v14, v11, 4, v2
	v_lshl_or_b32 v3, v3, 4, v2
	v_lshrrev_b32_e32 v17, 3, v16
	v_or_b32_e32 v26, 3, v10
	s_waitcnt lgkmcnt(0)
	; wave barrier
	ds_read_b128 v[54:57], v14
	ds_read_b128 v[50:53], v3
	v_xor_b32_e32 v3, v17, v1
	v_xor_b32_e32 v4, v26, v1
	v_or_b32_e32 v27, 32, v99
	v_lshl_or_b32 v3, v3, 4, v2
	v_lshl_or_b32 v4, v4, 4, v2
	v_lshrrev_b32_e32 v28, 3, v27
	v_or_b32_e32 v29, 5, v10
	ds_read_b128 v[38:41], v3
	ds_read_b128 v[34:37], v4
	v_xor_b32_e32 v3, v28, v1
	v_xor_b32_e32 v4, v29, v1
	v_or_b32_e32 v30, 48, v99
	v_lshlrev_b32_e32 v13, 8, v1
	v_lshl_or_b32 v3, v3, 4, v2
	v_lshl_or_b32 v4, v4, 4, v2
	v_lshrrev_b32_e32 v100, 3, v30
	v_or_b32_e32 v101, 7, v10
	v_lshrrev_b32_e32 v16, 4, v16
	v_lshrrev_b32_e32 v27, 4, v27
	;; [unrolled: 1-line block ×3, first 2 shown]
	ds_read_b128 v[22:25], v3
	ds_read_b128 v[18:21], v4
	v_xor_b32_e32 v3, v100, v1
	v_xor_b32_e32 v4, v101, v1
	v_lshl_or_b32 v31, v12, 4, v13
	v_xor_b32_e32 v16, v16, v1
	v_xor_b32_e32 v27, v27, v1
	v_xor_b32_e32 v30, v30, v1
	v_lshl_or_b32 v3, v3, 4, v2
	v_lshl_or_b32 v2, v4, 4, v2
	v_or_b32_e32 v32, 0x4000, v31
	v_lshl_or_b32 v33, v16, 4, v13
	v_lshl_or_b32 v42, v27, 4, v13
	;; [unrolled: 1-line block ×3, first 2 shown]
	v_sub_u32_e32 v16, v16, v12
	ds_read_b128 v[6:9], v3
	ds_read_b128 v[2:5], v2
	ds_read_b128 v[90:93], v33 offset:16384
	ds_read_b128 v[86:89], v42 offset:16384
	;; [unrolled: 1-line block ×4, first 2 shown]
	v_lshl_add_u32 v16, v16, 4, v32
	ds_read_b128 v[82:85], v13 offset:16384
	ds_read_b128 v[74:77], v16 offset:4096
	v_sub_u32_e32 v13, v27, v12
	v_sub_u32_e32 v12, v30, v12
	v_lshl_add_u32 v13, v13, 4, v32
	v_lshl_add_u32 v12, v12, 4, v32
	ds_read_b128 v[70:73], v13 offset:4096
	ds_read_b128 v[66:69], v12 offset:4096
	v_or_b32_e32 v12, 16, v1
	v_xor_b32_sdwa v10, v10, v12 dst_sel:DWORD dst_unused:UNUSED_PAD src0_sel:DWORD src1_sel:WORD_0
	v_sub_u32_e32 v10, v10, v11
	v_xor_b32_sdwa v13, v15, v12 dst_sel:DWORD dst_unused:UNUSED_PAD src0_sel:DWORD src1_sel:WORD_0
	v_lshl_add_u32 v10, v10, 4, v14
	v_sub_u32_e32 v13, v13, v11
	v_lshl_add_u32 v13, v13, 4, v14
	ds_read_b128 v[62:65], v10 offset:8192
	ds_read_b128 v[58:61], v13 offset:8192
	v_xor_b32_sdwa v10, v17, v12 dst_sel:DWORD dst_unused:UNUSED_PAD src0_sel:DWORD src1_sel:WORD_0
	v_sub_u32_e32 v10, v10, v11
	v_xor_b32_sdwa v13, v26, v12 dst_sel:DWORD dst_unused:UNUSED_PAD src0_sel:DWORD src1_sel:WORD_0
	v_lshl_add_u32 v10, v10, 4, v14
	v_sub_u32_e32 v13, v13, v11
	v_lshl_add_u32 v13, v13, 4, v14
	ds_read_b128 v[46:49], v10 offset:8192
	ds_read_b128 v[42:45], v13 offset:8192
	;; [unrolled: 8-line block ×3, first 2 shown]
	v_xor_b32_sdwa v10, v100, v12 dst_sel:DWORD dst_unused:UNUSED_PAD src0_sel:DWORD src1_sel:WORD_0
	v_xor_b32_sdwa v12, v101, v12 dst_sel:DWORD dst_unused:UNUSED_PAD src0_sel:DWORD src1_sel:WORD_0
	v_sub_u32_e32 v10, v10, v11
	v_sub_u32_e32 v11, v12, v11
	v_lshl_add_u32 v10, v10, 4, v14
	v_lshl_add_u32 v11, v11, 4, v14
	ds_read_b128 v[14:17], v10 offset:8192
	ds_read_b128 v[10:13], v11 offset:8192
	s_movk_i32 s0, 0x7f
	s_waitcnt lgkmcnt(13)
	v_cmp_gt_i16_sdwa s[2:3], v94, s0 src0_sel:BYTE_0 src1_sel:DWORD
	s_mov_b64 s[0:1], 0
	s_and_saveexec_b64 s[4:5], s[2:3]
	s_xor_b64 s[2:3], exec, s[4:5]
	s_cbranch_execnz .LBB8_523
; %bb.11:
	s_or_saveexec_b64 s[2:3], s[2:3]
	v_mov_b32_e32 v100, s7
	s_xor_b64 exec, exec, s[2:3]
	s_cbranch_execnz .LBB8_526
.LBB8_12:
	s_or_b64 exec, exec, s[2:3]
	s_and_saveexec_b64 s[2:3], s[0:1]
	s_cbranch_execz .LBB8_14
.LBB8_13:
	v_and_b32_e32 v100, 7, v94
	v_ffbh_u32_e32 v103, v100
	v_min_u32_e32 v103, 32, v103
	v_lshrrev_b16_e32 v102, 3, v94
	v_subrev_u32_e32 v104, 28, v103
	v_and_b32_e32 v102, 15, v102
	v_lshlrev_b32_e32 v104, v104, v100
	v_sub_u32_e32 v103, 29, v103
	v_and_b32_e32 v104, 7, v104
	v_cmp_eq_u16_e32 vcc, 0, v102
	v_lshrrev_b16_e32 v101, 7, v94
	v_cndmask_b32_e32 v100, v100, v104, vcc
	v_cndmask_b32_e32 v102, v102, v103, vcc
	v_mov_b32_e32 v103, 0x3b800000
	v_lshlrev_b32_e32 v100, 20, v100
	v_lshlrev_b32_e32 v101, 31, v101
	v_lshl_add_u32 v102, v102, 23, v103
	v_or3_b32 v100, v101, v102, v100
.LBB8_14:
	s_or_b64 exec, exec, s[2:3]
	s_movk_i32 s0, 0x7f
	v_cmp_gt_i16_sdwa s[2:3], v94, s0 src0_sel:BYTE_1 src1_sel:DWORD
	s_mov_b64 s[0:1], 0
                                        ; implicit-def: $sgpr7
	s_and_saveexec_b64 s[4:5], s[2:3]
	s_xor_b64 s[2:3], exec, s[4:5]
	s_cbranch_execnz .LBB8_527
; %bb.15:
	s_or_saveexec_b64 s[2:3], s[2:3]
	v_mov_b32_e32 v101, s7
	s_xor_b64 exec, exec, s[2:3]
	s_cbranch_execnz .LBB8_530
.LBB8_16:
	s_or_b64 exec, exec, s[2:3]
	s_and_saveexec_b64 s[2:3], s[0:1]
	s_cbranch_execz .LBB8_18
.LBB8_17:
	v_mov_b32_e32 v101, 7
	v_and_b32_sdwa v101, v94, v101 dst_sel:DWORD dst_unused:UNUSED_PAD src0_sel:BYTE_1 src1_sel:DWORD
	v_ffbh_u32_e32 v104, v101
	v_min_u32_e32 v104, 32, v104
	v_lshrrev_b16_e32 v103, 11, v94
	v_subrev_u32_e32 v105, 28, v104
	v_and_b32_e32 v103, 15, v103
	v_lshlrev_b32_e32 v105, v105, v101
	v_sub_u32_e32 v104, 29, v104
	v_and_b32_e32 v105, 7, v105
	v_cmp_eq_u16_e32 vcc, 0, v103
	v_lshrrev_b16_e32 v102, 15, v94
	v_cndmask_b32_e32 v101, v101, v105, vcc
	v_cndmask_b32_e32 v103, v103, v104, vcc
	v_mov_b32_e32 v104, 0x3b800000
	v_lshlrev_b32_e32 v101, 20, v101
	v_lshlrev_b32_e32 v102, 31, v102
	v_lshl_add_u32 v103, v103, 23, v104
	v_or3_b32 v101, v102, v103, v101
.LBB8_18:
	s_or_b64 exec, exec, s[2:3]
	s_movk_i32 s0, 0xff
	v_and_b32_sdwa v103, v94, s0 dst_sel:DWORD dst_unused:UNUSED_PAD src0_sel:WORD_1 src1_sel:DWORD
	s_movk_i32 s0, 0x7f
	v_cmp_lt_i16_e32 vcc, s0, v103
	s_mov_b64 s[0:1], 0
                                        ; implicit-def: $sgpr7
	s_and_saveexec_b64 s[2:3], vcc
	s_xor_b64 s[2:3], exec, s[2:3]
	s_cbranch_execnz .LBB8_531
; %bb.19:
	s_or_saveexec_b64 s[2:3], s[2:3]
	v_mov_b32_e32 v102, s7
	s_xor_b64 exec, exec, s[2:3]
	s_cbranch_execnz .LBB8_534
.LBB8_20:
	s_or_b64 exec, exec, s[2:3]
	s_and_saveexec_b64 s[2:3], s[0:1]
	s_cbranch_execz .LBB8_22
.LBB8_21:
	v_mov_b32_e32 v102, 7
	v_and_b32_sdwa v103, v94, v102 dst_sel:DWORD dst_unused:UNUSED_PAD src0_sel:WORD_1 src1_sel:DWORD
	v_ffbh_u32_e32 v105, v103
	v_mov_b32_e32 v104, 3
	v_min_u32_e32 v105, 32, v105
	v_lshrrev_b16_sdwa v104, v104, v94 dst_sel:DWORD dst_unused:UNUSED_PAD src0_sel:DWORD src1_sel:WORD_1
	v_subrev_u32_e32 v106, 28, v105
	v_and_b32_e32 v104, 15, v104
	v_lshlrev_b32_e32 v106, v106, v103
	v_sub_u32_e32 v105, 29, v105
	v_and_b32_e32 v106, 7, v106
	v_cmp_eq_u16_e32 vcc, 0, v104
	v_lshrrev_b16_sdwa v102, v102, v94 dst_sel:DWORD dst_unused:UNUSED_PAD src0_sel:DWORD src1_sel:WORD_1
	v_cndmask_b32_e32 v103, v103, v106, vcc
	v_cndmask_b32_e32 v104, v104, v105, vcc
	v_mov_b32_e32 v105, 0x3b800000
	v_lshlrev_b32_e32 v103, 20, v103
	v_lshlrev_b32_e32 v102, 31, v102
	v_lshl_add_u32 v104, v104, 23, v105
	v_or3_b32 v102, v102, v104, v103
.LBB8_22:
	s_or_b64 exec, exec, s[2:3]
	v_mov_b32_e32 v103, 8
	v_lshrrev_b16_sdwa v104, v103, v94 dst_sel:DWORD dst_unused:UNUSED_PAD src0_sel:DWORD src1_sel:WORD_1
	s_movk_i32 s0, 0x7f
	v_cmp_lt_i16_e32 vcc, s0, v104
	s_mov_b64 s[0:1], 0
                                        ; implicit-def: $sgpr7
	s_and_saveexec_b64 s[2:3], vcc
	s_xor_b64 s[2:3], exec, s[2:3]
	s_cbranch_execnz .LBB8_535
; %bb.23:
	s_or_saveexec_b64 s[2:3], s[2:3]
	v_mov_b32_e32 v103, s7
	s_xor_b64 exec, exec, s[2:3]
	s_cbranch_execnz .LBB8_538
.LBB8_24:
	s_or_b64 exec, exec, s[2:3]
	s_and_saveexec_b64 s[2:3], s[0:1]
	s_cbranch_execz .LBB8_26
.LBB8_25:
	v_mov_b32_e32 v103, 8
	v_lshrrev_b16_sdwa v103, v103, v94 dst_sel:DWORD dst_unused:UNUSED_PAD src0_sel:DWORD src1_sel:WORD_1
	v_and_b32_e32 v103, 7, v103
	v_mov_b32_e32 v104, 15
	v_mov_b32_e32 v105, 11
	v_lshrrev_b16_sdwa v104, v104, v94 dst_sel:DWORD dst_unused:UNUSED_PAD src0_sel:DWORD src1_sel:WORD_1
	v_lshrrev_b16_sdwa v94, v105, v94 dst_sel:DWORD dst_unused:UNUSED_PAD src0_sel:DWORD src1_sel:WORD_1
	v_ffbh_u32_e32 v105, v103
	v_min_u32_e32 v105, 32, v105
	v_subrev_u32_e32 v106, 28, v105
	v_and_b32_e32 v94, 15, v94
	v_lshlrev_b32_e32 v106, v106, v103
	v_sub_u32_e32 v105, 29, v105
	v_and_b32_e32 v106, 7, v106
	v_cmp_eq_u16_e32 vcc, 0, v94
	v_cndmask_b32_e32 v103, v103, v106, vcc
	v_cndmask_b32_e32 v94, v94, v105, vcc
	v_mov_b32_e32 v105, 0x3b800000
	v_lshlrev_b32_e32 v103, 20, v103
	v_lshlrev_b32_e32 v104, 31, v104
	v_lshl_add_u32 v94, v94, 23, v105
	v_or3_b32 v103, v104, v94, v103
.LBB8_26:
	s_or_b64 exec, exec, s[2:3]
	s_movk_i32 s0, 0x7f
	v_cmp_gt_i16_sdwa s[2:3], v95, s0 src0_sel:BYTE_0 src1_sel:DWORD
	s_mov_b64 s[0:1], 0
                                        ; implicit-def: $sgpr7
	s_and_saveexec_b64 s[4:5], s[2:3]
	s_xor_b64 s[2:3], exec, s[4:5]
	s_cbranch_execnz .LBB8_539
; %bb.27:
	s_or_saveexec_b64 s[2:3], s[2:3]
	v_mov_b32_e32 v94, s7
	s_xor_b64 exec, exec, s[2:3]
	s_cbranch_execnz .LBB8_542
.LBB8_28:
	s_or_b64 exec, exec, s[2:3]
	s_and_saveexec_b64 s[2:3], s[0:1]
	s_cbranch_execz .LBB8_30
.LBB8_29:
	v_and_b32_e32 v94, 7, v95
	v_ffbh_u32_e32 v106, v94
	v_min_u32_e32 v106, 32, v106
	v_lshrrev_b16_e32 v105, 3, v95
	v_subrev_u32_e32 v107, 28, v106
	v_and_b32_e32 v105, 15, v105
	v_lshlrev_b32_e32 v107, v107, v94
	v_sub_u32_e32 v106, 29, v106
	v_and_b32_e32 v107, 7, v107
	v_cmp_eq_u16_e32 vcc, 0, v105
	v_lshrrev_b16_e32 v104, 7, v95
	v_cndmask_b32_e32 v94, v94, v107, vcc
	v_cndmask_b32_e32 v105, v105, v106, vcc
	v_mov_b32_e32 v106, 0x3b800000
	v_lshlrev_b32_e32 v94, 20, v94
	v_lshlrev_b32_e32 v104, 31, v104
	v_lshl_add_u32 v105, v105, 23, v106
	v_or3_b32 v94, v104, v105, v94
.LBB8_30:
	s_or_b64 exec, exec, s[2:3]
	s_movk_i32 s0, 0x7f
	v_cmp_gt_i16_sdwa s[2:3], v95, s0 src0_sel:BYTE_1 src1_sel:DWORD
	s_mov_b64 s[0:1], 0
                                        ; implicit-def: $sgpr7
	s_and_saveexec_b64 s[4:5], s[2:3]
	s_xor_b64 s[2:3], exec, s[4:5]
	s_cbranch_execnz .LBB8_543
; %bb.31:
	s_or_saveexec_b64 s[2:3], s[2:3]
	v_mov_b32_e32 v104, s7
	s_xor_b64 exec, exec, s[2:3]
	s_cbranch_execnz .LBB8_546
.LBB8_32:
	s_or_b64 exec, exec, s[2:3]
	s_and_saveexec_b64 s[2:3], s[0:1]
	s_cbranch_execz .LBB8_34
.LBB8_33:
	v_mov_b32_e32 v104, 7
	v_and_b32_sdwa v104, v95, v104 dst_sel:DWORD dst_unused:UNUSED_PAD src0_sel:BYTE_1 src1_sel:DWORD
	v_ffbh_u32_e32 v107, v104
	v_min_u32_e32 v107, 32, v107
	v_lshrrev_b16_e32 v106, 11, v95
	v_subrev_u32_e32 v108, 28, v107
	v_and_b32_e32 v106, 15, v106
	v_lshlrev_b32_e32 v108, v108, v104
	v_sub_u32_e32 v107, 29, v107
	v_and_b32_e32 v108, 7, v108
	v_cmp_eq_u16_e32 vcc, 0, v106
	v_lshrrev_b16_e32 v105, 15, v95
	v_cndmask_b32_e32 v104, v104, v108, vcc
	v_cndmask_b32_e32 v106, v106, v107, vcc
	v_mov_b32_e32 v107, 0x3b800000
	v_lshlrev_b32_e32 v104, 20, v104
	v_lshlrev_b32_e32 v105, 31, v105
	v_lshl_add_u32 v106, v106, 23, v107
	v_or3_b32 v104, v105, v106, v104
.LBB8_34:
	s_or_b64 exec, exec, s[2:3]
	s_movk_i32 s0, 0xff
	v_and_b32_sdwa v106, v95, s0 dst_sel:DWORD dst_unused:UNUSED_PAD src0_sel:WORD_1 src1_sel:DWORD
	s_movk_i32 s0, 0x7f
	v_cmp_lt_i16_e32 vcc, s0, v106
	s_mov_b64 s[0:1], 0
                                        ; implicit-def: $sgpr7
	s_and_saveexec_b64 s[2:3], vcc
	s_xor_b64 s[2:3], exec, s[2:3]
	s_cbranch_execnz .LBB8_547
; %bb.35:
	s_or_saveexec_b64 s[2:3], s[2:3]
	v_mov_b32_e32 v105, s7
	s_xor_b64 exec, exec, s[2:3]
	s_cbranch_execnz .LBB8_550
.LBB8_36:
	s_or_b64 exec, exec, s[2:3]
	s_and_saveexec_b64 s[2:3], s[0:1]
	s_cbranch_execz .LBB8_38
.LBB8_37:
	v_mov_b32_e32 v105, 7
	v_and_b32_sdwa v106, v95, v105 dst_sel:DWORD dst_unused:UNUSED_PAD src0_sel:WORD_1 src1_sel:DWORD
	v_ffbh_u32_e32 v108, v106
	v_mov_b32_e32 v107, 3
	v_min_u32_e32 v108, 32, v108
	v_lshrrev_b16_sdwa v107, v107, v95 dst_sel:DWORD dst_unused:UNUSED_PAD src0_sel:DWORD src1_sel:WORD_1
	v_subrev_u32_e32 v109, 28, v108
	v_and_b32_e32 v107, 15, v107
	v_lshlrev_b32_e32 v109, v109, v106
	v_sub_u32_e32 v108, 29, v108
	v_and_b32_e32 v109, 7, v109
	v_cmp_eq_u16_e32 vcc, 0, v107
	v_lshrrev_b16_sdwa v105, v105, v95 dst_sel:DWORD dst_unused:UNUSED_PAD src0_sel:DWORD src1_sel:WORD_1
	v_cndmask_b32_e32 v106, v106, v109, vcc
	v_cndmask_b32_e32 v107, v107, v108, vcc
	v_mov_b32_e32 v108, 0x3b800000
	v_lshlrev_b32_e32 v106, 20, v106
	v_lshlrev_b32_e32 v105, 31, v105
	v_lshl_add_u32 v107, v107, 23, v108
	v_or3_b32 v105, v105, v107, v106
.LBB8_38:
	s_or_b64 exec, exec, s[2:3]
	v_mov_b32_e32 v106, 8
	v_lshrrev_b16_sdwa v107, v106, v95 dst_sel:DWORD dst_unused:UNUSED_PAD src0_sel:DWORD src1_sel:WORD_1
	s_movk_i32 s0, 0x7f
	v_cmp_lt_i16_e32 vcc, s0, v107
	s_mov_b64 s[0:1], 0
                                        ; implicit-def: $sgpr7
	s_and_saveexec_b64 s[2:3], vcc
	s_xor_b64 s[2:3], exec, s[2:3]
	s_cbranch_execnz .LBB8_551
; %bb.39:
	s_or_saveexec_b64 s[2:3], s[2:3]
	v_mov_b32_e32 v106, s7
	s_xor_b64 exec, exec, s[2:3]
	s_cbranch_execnz .LBB8_554
.LBB8_40:
	s_or_b64 exec, exec, s[2:3]
	s_and_saveexec_b64 s[2:3], s[0:1]
	s_cbranch_execz .LBB8_42
.LBB8_41:
	v_mov_b32_e32 v106, 8
	v_lshrrev_b16_sdwa v106, v106, v95 dst_sel:DWORD dst_unused:UNUSED_PAD src0_sel:DWORD src1_sel:WORD_1
	v_and_b32_e32 v106, 7, v106
	v_mov_b32_e32 v107, 15
	v_mov_b32_e32 v108, 11
	v_lshrrev_b16_sdwa v107, v107, v95 dst_sel:DWORD dst_unused:UNUSED_PAD src0_sel:DWORD src1_sel:WORD_1
	v_lshrrev_b16_sdwa v95, v108, v95 dst_sel:DWORD dst_unused:UNUSED_PAD src0_sel:DWORD src1_sel:WORD_1
	v_ffbh_u32_e32 v108, v106
	v_min_u32_e32 v108, 32, v108
	v_subrev_u32_e32 v109, 28, v108
	v_and_b32_e32 v95, 15, v95
	v_lshlrev_b32_e32 v109, v109, v106
	v_sub_u32_e32 v108, 29, v108
	v_and_b32_e32 v109, 7, v109
	v_cmp_eq_u16_e32 vcc, 0, v95
	v_cndmask_b32_e32 v106, v106, v109, vcc
	v_cndmask_b32_e32 v95, v95, v108, vcc
	v_mov_b32_e32 v108, 0x3b800000
	v_lshlrev_b32_e32 v106, 20, v106
	v_lshlrev_b32_e32 v107, 31, v107
	v_lshl_add_u32 v95, v95, 23, v108
	v_or3_b32 v106, v107, v95, v106
.LBB8_42:
	s_or_b64 exec, exec, s[2:3]
	s_movk_i32 s0, 0x7f
	v_cmp_gt_i16_sdwa s[2:3], v96, s0 src0_sel:BYTE_0 src1_sel:DWORD
	s_mov_b64 s[0:1], 0
                                        ; implicit-def: $sgpr7
	s_and_saveexec_b64 s[4:5], s[2:3]
	s_xor_b64 s[2:3], exec, s[4:5]
	s_cbranch_execnz .LBB8_555
; %bb.43:
	s_or_saveexec_b64 s[2:3], s[2:3]
	v_mov_b32_e32 v95, s7
	s_xor_b64 exec, exec, s[2:3]
	s_cbranch_execnz .LBB8_558
.LBB8_44:
	s_or_b64 exec, exec, s[2:3]
	s_and_saveexec_b64 s[2:3], s[0:1]
	s_cbranch_execz .LBB8_46
.LBB8_45:
	v_and_b32_e32 v95, 7, v96
	v_ffbh_u32_e32 v109, v95
	v_min_u32_e32 v109, 32, v109
	v_lshrrev_b16_e32 v108, 3, v96
	v_subrev_u32_e32 v110, 28, v109
	v_and_b32_e32 v108, 15, v108
	v_lshlrev_b32_e32 v110, v110, v95
	v_sub_u32_e32 v109, 29, v109
	v_and_b32_e32 v110, 7, v110
	v_cmp_eq_u16_e32 vcc, 0, v108
	v_lshrrev_b16_e32 v107, 7, v96
	v_cndmask_b32_e32 v95, v95, v110, vcc
	v_cndmask_b32_e32 v108, v108, v109, vcc
	v_mov_b32_e32 v109, 0x3b800000
	v_lshlrev_b32_e32 v95, 20, v95
	v_lshlrev_b32_e32 v107, 31, v107
	v_lshl_add_u32 v108, v108, 23, v109
	v_or3_b32 v95, v107, v108, v95
.LBB8_46:
	s_or_b64 exec, exec, s[2:3]
	s_movk_i32 s0, 0x7f
	v_cmp_gt_i16_sdwa s[2:3], v96, s0 src0_sel:BYTE_1 src1_sel:DWORD
	s_mov_b64 s[0:1], 0
                                        ; implicit-def: $sgpr7
	s_and_saveexec_b64 s[4:5], s[2:3]
	s_xor_b64 s[2:3], exec, s[4:5]
	s_cbranch_execnz .LBB8_559
; %bb.47:
	s_or_saveexec_b64 s[2:3], s[2:3]
	v_mov_b32_e32 v107, s7
	s_xor_b64 exec, exec, s[2:3]
	s_cbranch_execnz .LBB8_562
.LBB8_48:
	s_or_b64 exec, exec, s[2:3]
	s_and_saveexec_b64 s[2:3], s[0:1]
	s_cbranch_execz .LBB8_50
.LBB8_49:
	v_mov_b32_e32 v107, 7
	v_and_b32_sdwa v107, v96, v107 dst_sel:DWORD dst_unused:UNUSED_PAD src0_sel:BYTE_1 src1_sel:DWORD
	v_ffbh_u32_e32 v110, v107
	v_min_u32_e32 v110, 32, v110
	v_lshrrev_b16_e32 v109, 11, v96
	v_subrev_u32_e32 v111, 28, v110
	v_and_b32_e32 v109, 15, v109
	v_lshlrev_b32_e32 v111, v111, v107
	v_sub_u32_e32 v110, 29, v110
	v_and_b32_e32 v111, 7, v111
	v_cmp_eq_u16_e32 vcc, 0, v109
	v_lshrrev_b16_e32 v108, 15, v96
	v_cndmask_b32_e32 v107, v107, v111, vcc
	v_cndmask_b32_e32 v109, v109, v110, vcc
	v_mov_b32_e32 v110, 0x3b800000
	v_lshlrev_b32_e32 v107, 20, v107
	v_lshlrev_b32_e32 v108, 31, v108
	v_lshl_add_u32 v109, v109, 23, v110
	v_or3_b32 v107, v108, v109, v107
.LBB8_50:
	s_or_b64 exec, exec, s[2:3]
	s_movk_i32 s0, 0xff
	v_and_b32_sdwa v109, v96, s0 dst_sel:DWORD dst_unused:UNUSED_PAD src0_sel:WORD_1 src1_sel:DWORD
	s_movk_i32 s0, 0x7f
	v_cmp_lt_i16_e32 vcc, s0, v109
	s_mov_b64 s[0:1], 0
                                        ; implicit-def: $sgpr7
	s_and_saveexec_b64 s[2:3], vcc
	s_xor_b64 s[2:3], exec, s[2:3]
	s_cbranch_execnz .LBB8_563
; %bb.51:
	s_or_saveexec_b64 s[2:3], s[2:3]
	v_mov_b32_e32 v108, s7
	s_xor_b64 exec, exec, s[2:3]
	s_cbranch_execnz .LBB8_566
.LBB8_52:
	s_or_b64 exec, exec, s[2:3]
	s_and_saveexec_b64 s[2:3], s[0:1]
	s_cbranch_execz .LBB8_54
.LBB8_53:
	v_mov_b32_e32 v108, 7
	v_and_b32_sdwa v109, v96, v108 dst_sel:DWORD dst_unused:UNUSED_PAD src0_sel:WORD_1 src1_sel:DWORD
	v_ffbh_u32_e32 v111, v109
	v_mov_b32_e32 v110, 3
	v_min_u32_e32 v111, 32, v111
	v_lshrrev_b16_sdwa v110, v110, v96 dst_sel:DWORD dst_unused:UNUSED_PAD src0_sel:DWORD src1_sel:WORD_1
	v_subrev_u32_e32 v112, 28, v111
	v_and_b32_e32 v110, 15, v110
	v_lshlrev_b32_e32 v112, v112, v109
	v_sub_u32_e32 v111, 29, v111
	v_and_b32_e32 v112, 7, v112
	v_cmp_eq_u16_e32 vcc, 0, v110
	v_lshrrev_b16_sdwa v108, v108, v96 dst_sel:DWORD dst_unused:UNUSED_PAD src0_sel:DWORD src1_sel:WORD_1
	v_cndmask_b32_e32 v109, v109, v112, vcc
	v_cndmask_b32_e32 v110, v110, v111, vcc
	v_mov_b32_e32 v111, 0x3b800000
	v_lshlrev_b32_e32 v109, 20, v109
	v_lshlrev_b32_e32 v108, 31, v108
	v_lshl_add_u32 v110, v110, 23, v111
	v_or3_b32 v108, v108, v110, v109
.LBB8_54:
	s_or_b64 exec, exec, s[2:3]
	v_mov_b32_e32 v109, 8
	v_lshrrev_b16_sdwa v110, v109, v96 dst_sel:DWORD dst_unused:UNUSED_PAD src0_sel:DWORD src1_sel:WORD_1
	s_movk_i32 s0, 0x7f
	v_cmp_lt_i16_e32 vcc, s0, v110
	s_mov_b64 s[0:1], 0
                                        ; implicit-def: $sgpr7
	s_and_saveexec_b64 s[2:3], vcc
	s_xor_b64 s[2:3], exec, s[2:3]
	s_cbranch_execnz .LBB8_567
; %bb.55:
	s_or_saveexec_b64 s[2:3], s[2:3]
	v_mov_b32_e32 v109, s7
	s_xor_b64 exec, exec, s[2:3]
	s_cbranch_execnz .LBB8_570
.LBB8_56:
	s_or_b64 exec, exec, s[2:3]
	s_and_saveexec_b64 s[2:3], s[0:1]
	s_cbranch_execz .LBB8_58
.LBB8_57:
	v_mov_b32_e32 v109, 8
	v_lshrrev_b16_sdwa v109, v109, v96 dst_sel:DWORD dst_unused:UNUSED_PAD src0_sel:DWORD src1_sel:WORD_1
	v_and_b32_e32 v109, 7, v109
	v_mov_b32_e32 v110, 15
	v_mov_b32_e32 v111, 11
	v_lshrrev_b16_sdwa v110, v110, v96 dst_sel:DWORD dst_unused:UNUSED_PAD src0_sel:DWORD src1_sel:WORD_1
	v_lshrrev_b16_sdwa v96, v111, v96 dst_sel:DWORD dst_unused:UNUSED_PAD src0_sel:DWORD src1_sel:WORD_1
	v_ffbh_u32_e32 v111, v109
	v_min_u32_e32 v111, 32, v111
	v_subrev_u32_e32 v112, 28, v111
	v_and_b32_e32 v96, 15, v96
	v_lshlrev_b32_e32 v112, v112, v109
	v_sub_u32_e32 v111, 29, v111
	v_and_b32_e32 v112, 7, v112
	v_cmp_eq_u16_e32 vcc, 0, v96
	v_cndmask_b32_e32 v109, v109, v112, vcc
	v_cndmask_b32_e32 v96, v96, v111, vcc
	v_mov_b32_e32 v111, 0x3b800000
	v_lshlrev_b32_e32 v109, 20, v109
	v_lshlrev_b32_e32 v110, 31, v110
	v_lshl_add_u32 v96, v96, 23, v111
	v_or3_b32 v109, v110, v96, v109
.LBB8_58:
	s_or_b64 exec, exec, s[2:3]
	s_movk_i32 s0, 0x7f
	v_cmp_gt_i16_sdwa s[2:3], v97, s0 src0_sel:BYTE_0 src1_sel:DWORD
	s_mov_b64 s[0:1], 0
                                        ; implicit-def: $sgpr7
	s_and_saveexec_b64 s[4:5], s[2:3]
	s_xor_b64 s[2:3], exec, s[4:5]
	s_cbranch_execnz .LBB8_571
; %bb.59:
	s_or_saveexec_b64 s[2:3], s[2:3]
	v_mov_b32_e32 v96, s7
	s_xor_b64 exec, exec, s[2:3]
	s_cbranch_execnz .LBB8_574
.LBB8_60:
	s_or_b64 exec, exec, s[2:3]
	s_and_saveexec_b64 s[2:3], s[0:1]
	s_cbranch_execz .LBB8_62
.LBB8_61:
	v_and_b32_e32 v96, 7, v97
	v_ffbh_u32_e32 v112, v96
	v_min_u32_e32 v112, 32, v112
	v_lshrrev_b16_e32 v111, 3, v97
	v_subrev_u32_e32 v113, 28, v112
	v_and_b32_e32 v111, 15, v111
	v_lshlrev_b32_e32 v113, v113, v96
	v_sub_u32_e32 v112, 29, v112
	v_and_b32_e32 v113, 7, v113
	v_cmp_eq_u16_e32 vcc, 0, v111
	v_lshrrev_b16_e32 v110, 7, v97
	v_cndmask_b32_e32 v96, v96, v113, vcc
	v_cndmask_b32_e32 v111, v111, v112, vcc
	v_mov_b32_e32 v112, 0x3b800000
	v_lshlrev_b32_e32 v96, 20, v96
	v_lshlrev_b32_e32 v110, 31, v110
	v_lshl_add_u32 v111, v111, 23, v112
	v_or3_b32 v96, v110, v111, v96
.LBB8_62:
	s_or_b64 exec, exec, s[2:3]
	s_movk_i32 s0, 0x7f
	v_cmp_gt_i16_sdwa s[2:3], v97, s0 src0_sel:BYTE_1 src1_sel:DWORD
	s_mov_b64 s[0:1], 0
                                        ; implicit-def: $sgpr7
	s_and_saveexec_b64 s[4:5], s[2:3]
	s_xor_b64 s[2:3], exec, s[4:5]
	s_cbranch_execnz .LBB8_575
; %bb.63:
	s_or_saveexec_b64 s[2:3], s[2:3]
	v_mov_b32_e32 v110, s7
	s_xor_b64 exec, exec, s[2:3]
	s_cbranch_execnz .LBB8_578
.LBB8_64:
	s_or_b64 exec, exec, s[2:3]
	s_and_saveexec_b64 s[2:3], s[0:1]
	s_cbranch_execz .LBB8_66
.LBB8_65:
	v_mov_b32_e32 v110, 7
	v_and_b32_sdwa v110, v97, v110 dst_sel:DWORD dst_unused:UNUSED_PAD src0_sel:BYTE_1 src1_sel:DWORD
	v_ffbh_u32_e32 v113, v110
	v_min_u32_e32 v113, 32, v113
	v_lshrrev_b16_e32 v112, 11, v97
	v_subrev_u32_e32 v114, 28, v113
	v_and_b32_e32 v112, 15, v112
	v_lshlrev_b32_e32 v114, v114, v110
	v_sub_u32_e32 v113, 29, v113
	v_and_b32_e32 v114, 7, v114
	v_cmp_eq_u16_e32 vcc, 0, v112
	v_lshrrev_b16_e32 v111, 15, v97
	v_cndmask_b32_e32 v110, v110, v114, vcc
	v_cndmask_b32_e32 v112, v112, v113, vcc
	v_mov_b32_e32 v113, 0x3b800000
	v_lshlrev_b32_e32 v110, 20, v110
	v_lshlrev_b32_e32 v111, 31, v111
	v_lshl_add_u32 v112, v112, 23, v113
	v_or3_b32 v110, v111, v112, v110
.LBB8_66:
	s_or_b64 exec, exec, s[2:3]
	s_movk_i32 s0, 0xff
	v_and_b32_sdwa v112, v97, s0 dst_sel:DWORD dst_unused:UNUSED_PAD src0_sel:WORD_1 src1_sel:DWORD
	s_movk_i32 s0, 0x7f
	v_cmp_lt_i16_e32 vcc, s0, v112
	s_mov_b64 s[0:1], 0
                                        ; implicit-def: $sgpr7
	s_and_saveexec_b64 s[2:3], vcc
	s_xor_b64 s[2:3], exec, s[2:3]
	s_cbranch_execnz .LBB8_579
; %bb.67:
	s_or_saveexec_b64 s[2:3], s[2:3]
	v_mov_b32_e32 v111, s7
	s_xor_b64 exec, exec, s[2:3]
	s_cbranch_execnz .LBB8_582
.LBB8_68:
	s_or_b64 exec, exec, s[2:3]
	s_and_saveexec_b64 s[2:3], s[0:1]
	s_cbranch_execz .LBB8_70
.LBB8_69:
	v_mov_b32_e32 v111, 7
	v_and_b32_sdwa v112, v97, v111 dst_sel:DWORD dst_unused:UNUSED_PAD src0_sel:WORD_1 src1_sel:DWORD
	v_ffbh_u32_e32 v114, v112
	v_mov_b32_e32 v113, 3
	v_min_u32_e32 v114, 32, v114
	v_lshrrev_b16_sdwa v113, v113, v97 dst_sel:DWORD dst_unused:UNUSED_PAD src0_sel:DWORD src1_sel:WORD_1
	v_subrev_u32_e32 v115, 28, v114
	v_and_b32_e32 v113, 15, v113
	v_lshlrev_b32_e32 v115, v115, v112
	v_sub_u32_e32 v114, 29, v114
	v_and_b32_e32 v115, 7, v115
	v_cmp_eq_u16_e32 vcc, 0, v113
	v_lshrrev_b16_sdwa v111, v111, v97 dst_sel:DWORD dst_unused:UNUSED_PAD src0_sel:DWORD src1_sel:WORD_1
	v_cndmask_b32_e32 v112, v112, v115, vcc
	v_cndmask_b32_e32 v113, v113, v114, vcc
	v_mov_b32_e32 v114, 0x3b800000
	v_lshlrev_b32_e32 v112, 20, v112
	v_lshlrev_b32_e32 v111, 31, v111
	v_lshl_add_u32 v113, v113, 23, v114
	v_or3_b32 v111, v111, v113, v112
.LBB8_70:
	s_or_b64 exec, exec, s[2:3]
	v_mov_b32_e32 v112, 8
	v_lshrrev_b16_sdwa v113, v112, v97 dst_sel:DWORD dst_unused:UNUSED_PAD src0_sel:DWORD src1_sel:WORD_1
	s_movk_i32 s0, 0x7f
	v_cmp_lt_i16_e32 vcc, s0, v113
	s_mov_b64 s[0:1], 0
                                        ; implicit-def: $sgpr7
	s_and_saveexec_b64 s[2:3], vcc
	s_xor_b64 s[2:3], exec, s[2:3]
	s_cbranch_execnz .LBB8_583
; %bb.71:
	s_or_saveexec_b64 s[2:3], s[2:3]
	v_mov_b32_e32 v112, s7
	s_xor_b64 exec, exec, s[2:3]
	s_cbranch_execnz .LBB8_586
.LBB8_72:
	s_or_b64 exec, exec, s[2:3]
	s_and_saveexec_b64 s[2:3], s[0:1]
	s_cbranch_execz .LBB8_74
.LBB8_73:
	v_mov_b32_e32 v112, 8
	v_lshrrev_b16_sdwa v112, v112, v97 dst_sel:DWORD dst_unused:UNUSED_PAD src0_sel:DWORD src1_sel:WORD_1
	v_and_b32_e32 v112, 7, v112
	v_mov_b32_e32 v113, 15
	v_mov_b32_e32 v114, 11
	v_lshrrev_b16_sdwa v113, v113, v97 dst_sel:DWORD dst_unused:UNUSED_PAD src0_sel:DWORD src1_sel:WORD_1
	v_lshrrev_b16_sdwa v97, v114, v97 dst_sel:DWORD dst_unused:UNUSED_PAD src0_sel:DWORD src1_sel:WORD_1
	v_ffbh_u32_e32 v114, v112
	v_min_u32_e32 v114, 32, v114
	v_subrev_u32_e32 v115, 28, v114
	v_and_b32_e32 v97, 15, v97
	v_lshlrev_b32_e32 v115, v115, v112
	v_sub_u32_e32 v114, 29, v114
	v_and_b32_e32 v115, 7, v115
	v_cmp_eq_u16_e32 vcc, 0, v97
	v_cndmask_b32_e32 v112, v112, v115, vcc
	v_cndmask_b32_e32 v97, v97, v114, vcc
	v_mov_b32_e32 v114, 0x3b800000
	v_lshlrev_b32_e32 v112, 20, v112
	v_lshlrev_b32_e32 v113, 31, v113
	v_lshl_add_u32 v97, v97, 23, v114
	v_or3_b32 v112, v113, v97, v112
.LBB8_74:
	s_or_b64 exec, exec, s[2:3]
	s_movk_i32 s0, 0x7f
	v_cmp_gt_i16_sdwa s[2:3], v90, s0 src0_sel:BYTE_0 src1_sel:DWORD
	s_mov_b64 s[0:1], 0
                                        ; implicit-def: $sgpr7
	s_and_saveexec_b64 s[4:5], s[2:3]
	s_xor_b64 s[2:3], exec, s[4:5]
	s_cbranch_execnz .LBB8_587
; %bb.75:
	s_or_saveexec_b64 s[2:3], s[2:3]
	v_mov_b32_e32 v97, s7
	s_xor_b64 exec, exec, s[2:3]
	s_cbranch_execnz .LBB8_590
.LBB8_76:
	s_or_b64 exec, exec, s[2:3]
	s_and_saveexec_b64 s[2:3], s[0:1]
	s_cbranch_execz .LBB8_78
.LBB8_77:
	v_and_b32_e32 v97, 7, v90
	v_ffbh_u32_e32 v115, v97
	v_min_u32_e32 v115, 32, v115
	v_lshrrev_b16_e32 v114, 3, v90
	v_subrev_u32_e32 v116, 28, v115
	v_and_b32_e32 v114, 15, v114
	v_lshlrev_b32_e32 v116, v116, v97
	v_sub_u32_e32 v115, 29, v115
	v_and_b32_e32 v116, 7, v116
	v_cmp_eq_u16_e32 vcc, 0, v114
	v_lshrrev_b16_e32 v113, 7, v90
	v_cndmask_b32_e32 v97, v97, v116, vcc
	v_cndmask_b32_e32 v114, v114, v115, vcc
	v_mov_b32_e32 v115, 0x3b800000
	v_lshlrev_b32_e32 v97, 20, v97
	v_lshlrev_b32_e32 v113, 31, v113
	v_lshl_add_u32 v114, v114, 23, v115
	v_or3_b32 v97, v113, v114, v97
.LBB8_78:
	s_or_b64 exec, exec, s[2:3]
	s_movk_i32 s0, 0x7f
	v_cmp_gt_i16_sdwa s[2:3], v90, s0 src0_sel:BYTE_1 src1_sel:DWORD
	s_mov_b64 s[0:1], 0
                                        ; implicit-def: $sgpr7
	s_and_saveexec_b64 s[4:5], s[2:3]
	s_xor_b64 s[2:3], exec, s[4:5]
	s_cbranch_execnz .LBB8_591
; %bb.79:
	s_or_saveexec_b64 s[2:3], s[2:3]
	v_mov_b32_e32 v113, s7
	s_xor_b64 exec, exec, s[2:3]
	s_cbranch_execnz .LBB8_594
.LBB8_80:
	s_or_b64 exec, exec, s[2:3]
	s_and_saveexec_b64 s[2:3], s[0:1]
	s_cbranch_execz .LBB8_82
.LBB8_81:
	v_mov_b32_e32 v113, 7
	v_and_b32_sdwa v113, v90, v113 dst_sel:DWORD dst_unused:UNUSED_PAD src0_sel:BYTE_1 src1_sel:DWORD
	v_ffbh_u32_e32 v116, v113
	v_min_u32_e32 v116, 32, v116
	v_lshrrev_b16_e32 v115, 11, v90
	v_subrev_u32_e32 v117, 28, v116
	v_and_b32_e32 v115, 15, v115
	v_lshlrev_b32_e32 v117, v117, v113
	v_sub_u32_e32 v116, 29, v116
	v_and_b32_e32 v117, 7, v117
	v_cmp_eq_u16_e32 vcc, 0, v115
	v_lshrrev_b16_e32 v114, 15, v90
	v_cndmask_b32_e32 v113, v113, v117, vcc
	v_cndmask_b32_e32 v115, v115, v116, vcc
	v_mov_b32_e32 v116, 0x3b800000
	v_lshlrev_b32_e32 v113, 20, v113
	v_lshlrev_b32_e32 v114, 31, v114
	v_lshl_add_u32 v115, v115, 23, v116
	v_or3_b32 v113, v114, v115, v113
.LBB8_82:
	s_or_b64 exec, exec, s[2:3]
	s_movk_i32 s0, 0xff
	v_and_b32_sdwa v115, v90, s0 dst_sel:DWORD dst_unused:UNUSED_PAD src0_sel:WORD_1 src1_sel:DWORD
	s_movk_i32 s0, 0x7f
	v_cmp_lt_i16_e32 vcc, s0, v115
	s_mov_b64 s[0:1], 0
                                        ; implicit-def: $sgpr7
	s_and_saveexec_b64 s[2:3], vcc
	s_xor_b64 s[2:3], exec, s[2:3]
	s_cbranch_execnz .LBB8_595
; %bb.83:
	s_or_saveexec_b64 s[2:3], s[2:3]
	v_mov_b32_e32 v114, s7
	s_xor_b64 exec, exec, s[2:3]
	s_cbranch_execnz .LBB8_598
.LBB8_84:
	s_or_b64 exec, exec, s[2:3]
	s_and_saveexec_b64 s[2:3], s[0:1]
	s_cbranch_execz .LBB8_86
.LBB8_85:
	v_mov_b32_e32 v114, 7
	v_and_b32_sdwa v115, v90, v114 dst_sel:DWORD dst_unused:UNUSED_PAD src0_sel:WORD_1 src1_sel:DWORD
	v_ffbh_u32_e32 v117, v115
	v_mov_b32_e32 v116, 3
	v_min_u32_e32 v117, 32, v117
	v_lshrrev_b16_sdwa v116, v116, v90 dst_sel:DWORD dst_unused:UNUSED_PAD src0_sel:DWORD src1_sel:WORD_1
	v_subrev_u32_e32 v118, 28, v117
	v_and_b32_e32 v116, 15, v116
	v_lshlrev_b32_e32 v118, v118, v115
	v_sub_u32_e32 v117, 29, v117
	v_and_b32_e32 v118, 7, v118
	v_cmp_eq_u16_e32 vcc, 0, v116
	v_lshrrev_b16_sdwa v114, v114, v90 dst_sel:DWORD dst_unused:UNUSED_PAD src0_sel:DWORD src1_sel:WORD_1
	v_cndmask_b32_e32 v115, v115, v118, vcc
	v_cndmask_b32_e32 v116, v116, v117, vcc
	v_mov_b32_e32 v117, 0x3b800000
	v_lshlrev_b32_e32 v115, 20, v115
	v_lshlrev_b32_e32 v114, 31, v114
	v_lshl_add_u32 v116, v116, 23, v117
	v_or3_b32 v114, v114, v116, v115
.LBB8_86:
	s_or_b64 exec, exec, s[2:3]
	v_mov_b32_e32 v115, 8
	v_lshrrev_b16_sdwa v116, v115, v90 dst_sel:DWORD dst_unused:UNUSED_PAD src0_sel:DWORD src1_sel:WORD_1
	s_movk_i32 s0, 0x7f
	v_cmp_lt_i16_e32 vcc, s0, v116
	s_mov_b64 s[0:1], 0
                                        ; implicit-def: $sgpr7
	s_and_saveexec_b64 s[2:3], vcc
	s_xor_b64 s[2:3], exec, s[2:3]
	s_cbranch_execnz .LBB8_599
; %bb.87:
	s_or_saveexec_b64 s[2:3], s[2:3]
	v_mov_b32_e32 v115, s7
	s_xor_b64 exec, exec, s[2:3]
	s_cbranch_execnz .LBB8_602
.LBB8_88:
	s_or_b64 exec, exec, s[2:3]
	s_and_saveexec_b64 s[2:3], s[0:1]
	s_cbranch_execz .LBB8_90
.LBB8_89:
	v_mov_b32_e32 v115, 8
	v_lshrrev_b16_sdwa v115, v115, v90 dst_sel:DWORD dst_unused:UNUSED_PAD src0_sel:DWORD src1_sel:WORD_1
	v_and_b32_e32 v115, 7, v115
	v_mov_b32_e32 v116, 15
	v_mov_b32_e32 v117, 11
	v_lshrrev_b16_sdwa v116, v116, v90 dst_sel:DWORD dst_unused:UNUSED_PAD src0_sel:DWORD src1_sel:WORD_1
	v_lshrrev_b16_sdwa v90, v117, v90 dst_sel:DWORD dst_unused:UNUSED_PAD src0_sel:DWORD src1_sel:WORD_1
	v_ffbh_u32_e32 v117, v115
	v_min_u32_e32 v117, 32, v117
	v_subrev_u32_e32 v118, 28, v117
	v_and_b32_e32 v90, 15, v90
	v_lshlrev_b32_e32 v118, v118, v115
	v_sub_u32_e32 v117, 29, v117
	v_and_b32_e32 v118, 7, v118
	v_cmp_eq_u16_e32 vcc, 0, v90
	v_cndmask_b32_e32 v115, v115, v118, vcc
	v_cndmask_b32_e32 v90, v90, v117, vcc
	v_mov_b32_e32 v117, 0x3b800000
	v_lshlrev_b32_e32 v115, 20, v115
	v_lshlrev_b32_e32 v116, 31, v116
	v_lshl_add_u32 v90, v90, 23, v117
	v_or3_b32 v115, v116, v90, v115
.LBB8_90:
	s_or_b64 exec, exec, s[2:3]
	s_movk_i32 s0, 0x7f
	v_cmp_gt_i16_sdwa s[2:3], v91, s0 src0_sel:BYTE_0 src1_sel:DWORD
	s_mov_b64 s[0:1], 0
                                        ; implicit-def: $sgpr7
	s_and_saveexec_b64 s[4:5], s[2:3]
	s_xor_b64 s[2:3], exec, s[4:5]
	s_cbranch_execnz .LBB8_603
; %bb.91:
	s_or_saveexec_b64 s[2:3], s[2:3]
	v_mov_b32_e32 v90, s7
	s_xor_b64 exec, exec, s[2:3]
	s_cbranch_execnz .LBB8_606
.LBB8_92:
	s_or_b64 exec, exec, s[2:3]
	s_and_saveexec_b64 s[2:3], s[0:1]
	s_cbranch_execz .LBB8_94
.LBB8_93:
	v_and_b32_e32 v90, 7, v91
	v_ffbh_u32_e32 v118, v90
	v_min_u32_e32 v118, 32, v118
	v_lshrrev_b16_e32 v117, 3, v91
	v_subrev_u32_e32 v119, 28, v118
	v_and_b32_e32 v117, 15, v117
	v_lshlrev_b32_e32 v119, v119, v90
	v_sub_u32_e32 v118, 29, v118
	v_and_b32_e32 v119, 7, v119
	v_cmp_eq_u16_e32 vcc, 0, v117
	v_lshrrev_b16_e32 v116, 7, v91
	v_cndmask_b32_e32 v90, v90, v119, vcc
	v_cndmask_b32_e32 v117, v117, v118, vcc
	v_mov_b32_e32 v118, 0x3b800000
	v_lshlrev_b32_e32 v90, 20, v90
	v_lshlrev_b32_e32 v116, 31, v116
	v_lshl_add_u32 v117, v117, 23, v118
	v_or3_b32 v90, v116, v117, v90
.LBB8_94:
	s_or_b64 exec, exec, s[2:3]
	s_movk_i32 s0, 0x7f
	v_cmp_gt_i16_sdwa s[2:3], v91, s0 src0_sel:BYTE_1 src1_sel:DWORD
	s_mov_b64 s[0:1], 0
                                        ; implicit-def: $sgpr7
	s_and_saveexec_b64 s[4:5], s[2:3]
	s_xor_b64 s[2:3], exec, s[4:5]
	s_cbranch_execnz .LBB8_607
; %bb.95:
	s_or_saveexec_b64 s[2:3], s[2:3]
	v_mov_b32_e32 v116, s7
	s_xor_b64 exec, exec, s[2:3]
	s_cbranch_execnz .LBB8_610
.LBB8_96:
	s_or_b64 exec, exec, s[2:3]
	s_and_saveexec_b64 s[2:3], s[0:1]
	s_cbranch_execz .LBB8_98
.LBB8_97:
	v_mov_b32_e32 v116, 7
	v_and_b32_sdwa v116, v91, v116 dst_sel:DWORD dst_unused:UNUSED_PAD src0_sel:BYTE_1 src1_sel:DWORD
	v_ffbh_u32_e32 v119, v116
	v_min_u32_e32 v119, 32, v119
	v_lshrrev_b16_e32 v118, 11, v91
	v_subrev_u32_e32 v120, 28, v119
	v_and_b32_e32 v118, 15, v118
	v_lshlrev_b32_e32 v120, v120, v116
	v_sub_u32_e32 v119, 29, v119
	v_and_b32_e32 v120, 7, v120
	v_cmp_eq_u16_e32 vcc, 0, v118
	v_lshrrev_b16_e32 v117, 15, v91
	v_cndmask_b32_e32 v116, v116, v120, vcc
	v_cndmask_b32_e32 v118, v118, v119, vcc
	v_mov_b32_e32 v119, 0x3b800000
	v_lshlrev_b32_e32 v116, 20, v116
	v_lshlrev_b32_e32 v117, 31, v117
	v_lshl_add_u32 v118, v118, 23, v119
	v_or3_b32 v116, v117, v118, v116
.LBB8_98:
	s_or_b64 exec, exec, s[2:3]
	s_movk_i32 s0, 0xff
	v_and_b32_sdwa v118, v91, s0 dst_sel:DWORD dst_unused:UNUSED_PAD src0_sel:WORD_1 src1_sel:DWORD
	s_movk_i32 s0, 0x7f
	v_cmp_lt_i16_e32 vcc, s0, v118
	s_mov_b64 s[0:1], 0
                                        ; implicit-def: $sgpr7
	s_and_saveexec_b64 s[2:3], vcc
	s_xor_b64 s[2:3], exec, s[2:3]
	s_cbranch_execnz .LBB8_611
; %bb.99:
	s_or_saveexec_b64 s[2:3], s[2:3]
	v_mov_b32_e32 v117, s7
	s_xor_b64 exec, exec, s[2:3]
	s_cbranch_execnz .LBB8_614
.LBB8_100:
	s_or_b64 exec, exec, s[2:3]
	s_and_saveexec_b64 s[2:3], s[0:1]
	s_cbranch_execz .LBB8_102
.LBB8_101:
	v_mov_b32_e32 v117, 7
	v_and_b32_sdwa v118, v91, v117 dst_sel:DWORD dst_unused:UNUSED_PAD src0_sel:WORD_1 src1_sel:DWORD
	v_ffbh_u32_e32 v120, v118
	v_mov_b32_e32 v119, 3
	v_min_u32_e32 v120, 32, v120
	v_lshrrev_b16_sdwa v119, v119, v91 dst_sel:DWORD dst_unused:UNUSED_PAD src0_sel:DWORD src1_sel:WORD_1
	v_subrev_u32_e32 v121, 28, v120
	v_and_b32_e32 v119, 15, v119
	v_lshlrev_b32_e32 v121, v121, v118
	v_sub_u32_e32 v120, 29, v120
	v_and_b32_e32 v121, 7, v121
	v_cmp_eq_u16_e32 vcc, 0, v119
	v_lshrrev_b16_sdwa v117, v117, v91 dst_sel:DWORD dst_unused:UNUSED_PAD src0_sel:DWORD src1_sel:WORD_1
	v_cndmask_b32_e32 v118, v118, v121, vcc
	v_cndmask_b32_e32 v119, v119, v120, vcc
	v_mov_b32_e32 v120, 0x3b800000
	v_lshlrev_b32_e32 v118, 20, v118
	v_lshlrev_b32_e32 v117, 31, v117
	v_lshl_add_u32 v119, v119, 23, v120
	v_or3_b32 v117, v117, v119, v118
.LBB8_102:
	s_or_b64 exec, exec, s[2:3]
	v_mov_b32_e32 v118, 8
	v_lshrrev_b16_sdwa v119, v118, v91 dst_sel:DWORD dst_unused:UNUSED_PAD src0_sel:DWORD src1_sel:WORD_1
	s_movk_i32 s0, 0x7f
	v_cmp_lt_i16_e32 vcc, s0, v119
	s_mov_b64 s[0:1], 0
                                        ; implicit-def: $sgpr7
	s_and_saveexec_b64 s[2:3], vcc
	s_xor_b64 s[2:3], exec, s[2:3]
	s_cbranch_execnz .LBB8_615
; %bb.103:
	s_or_saveexec_b64 s[2:3], s[2:3]
	v_mov_b32_e32 v118, s7
	s_xor_b64 exec, exec, s[2:3]
	s_cbranch_execnz .LBB8_618
.LBB8_104:
	s_or_b64 exec, exec, s[2:3]
	s_and_saveexec_b64 s[2:3], s[0:1]
	s_cbranch_execz .LBB8_106
.LBB8_105:
	v_mov_b32_e32 v118, 8
	v_lshrrev_b16_sdwa v118, v118, v91 dst_sel:DWORD dst_unused:UNUSED_PAD src0_sel:DWORD src1_sel:WORD_1
	v_and_b32_e32 v118, 7, v118
	v_mov_b32_e32 v119, 15
	v_mov_b32_e32 v120, 11
	v_lshrrev_b16_sdwa v119, v119, v91 dst_sel:DWORD dst_unused:UNUSED_PAD src0_sel:DWORD src1_sel:WORD_1
	v_lshrrev_b16_sdwa v91, v120, v91 dst_sel:DWORD dst_unused:UNUSED_PAD src0_sel:DWORD src1_sel:WORD_1
	v_ffbh_u32_e32 v120, v118
	v_min_u32_e32 v120, 32, v120
	v_subrev_u32_e32 v121, 28, v120
	v_and_b32_e32 v91, 15, v91
	v_lshlrev_b32_e32 v121, v121, v118
	v_sub_u32_e32 v120, 29, v120
	v_and_b32_e32 v121, 7, v121
	v_cmp_eq_u16_e32 vcc, 0, v91
	v_cndmask_b32_e32 v118, v118, v121, vcc
	v_cndmask_b32_e32 v91, v91, v120, vcc
	v_mov_b32_e32 v120, 0x3b800000
	v_lshlrev_b32_e32 v118, 20, v118
	v_lshlrev_b32_e32 v119, 31, v119
	v_lshl_add_u32 v91, v91, 23, v120
	v_or3_b32 v118, v119, v91, v118
.LBB8_106:
	s_or_b64 exec, exec, s[2:3]
	s_movk_i32 s0, 0x7f
	v_cmp_gt_i16_sdwa s[2:3], v92, s0 src0_sel:BYTE_0 src1_sel:DWORD
	s_mov_b64 s[0:1], 0
                                        ; implicit-def: $sgpr7
	s_and_saveexec_b64 s[4:5], s[2:3]
	s_xor_b64 s[2:3], exec, s[4:5]
	s_cbranch_execnz .LBB8_619
; %bb.107:
	s_or_saveexec_b64 s[2:3], s[2:3]
	v_mov_b32_e32 v91, s7
	s_xor_b64 exec, exec, s[2:3]
	s_cbranch_execnz .LBB8_622
.LBB8_108:
	s_or_b64 exec, exec, s[2:3]
	s_and_saveexec_b64 s[2:3], s[0:1]
	s_cbranch_execz .LBB8_110
.LBB8_109:
	v_and_b32_e32 v91, 7, v92
	v_ffbh_u32_e32 v121, v91
	v_min_u32_e32 v121, 32, v121
	v_lshrrev_b16_e32 v120, 3, v92
	v_subrev_u32_e32 v122, 28, v121
	v_and_b32_e32 v120, 15, v120
	v_lshlrev_b32_e32 v122, v122, v91
	v_sub_u32_e32 v121, 29, v121
	v_and_b32_e32 v122, 7, v122
	v_cmp_eq_u16_e32 vcc, 0, v120
	v_lshrrev_b16_e32 v119, 7, v92
	v_cndmask_b32_e32 v91, v91, v122, vcc
	v_cndmask_b32_e32 v120, v120, v121, vcc
	v_mov_b32_e32 v121, 0x3b800000
	v_lshlrev_b32_e32 v91, 20, v91
	v_lshlrev_b32_e32 v119, 31, v119
	v_lshl_add_u32 v120, v120, 23, v121
	v_or3_b32 v91, v119, v120, v91
.LBB8_110:
	s_or_b64 exec, exec, s[2:3]
	s_movk_i32 s0, 0x7f
	v_cmp_gt_i16_sdwa s[2:3], v92, s0 src0_sel:BYTE_1 src1_sel:DWORD
	s_mov_b64 s[0:1], 0
                                        ; implicit-def: $sgpr7
	s_and_saveexec_b64 s[4:5], s[2:3]
	s_xor_b64 s[2:3], exec, s[4:5]
	s_cbranch_execnz .LBB8_623
; %bb.111:
	s_or_saveexec_b64 s[2:3], s[2:3]
	v_mov_b32_e32 v119, s7
	s_xor_b64 exec, exec, s[2:3]
	s_cbranch_execnz .LBB8_626
.LBB8_112:
	s_or_b64 exec, exec, s[2:3]
	s_and_saveexec_b64 s[2:3], s[0:1]
	s_cbranch_execz .LBB8_114
.LBB8_113:
	v_mov_b32_e32 v119, 7
	v_and_b32_sdwa v119, v92, v119 dst_sel:DWORD dst_unused:UNUSED_PAD src0_sel:BYTE_1 src1_sel:DWORD
	v_ffbh_u32_e32 v122, v119
	v_min_u32_e32 v122, 32, v122
	v_lshrrev_b16_e32 v121, 11, v92
	v_subrev_u32_e32 v123, 28, v122
	v_and_b32_e32 v121, 15, v121
	v_lshlrev_b32_e32 v123, v123, v119
	v_sub_u32_e32 v122, 29, v122
	v_and_b32_e32 v123, 7, v123
	v_cmp_eq_u16_e32 vcc, 0, v121
	v_lshrrev_b16_e32 v120, 15, v92
	v_cndmask_b32_e32 v119, v119, v123, vcc
	v_cndmask_b32_e32 v121, v121, v122, vcc
	v_mov_b32_e32 v122, 0x3b800000
	v_lshlrev_b32_e32 v119, 20, v119
	v_lshlrev_b32_e32 v120, 31, v120
	v_lshl_add_u32 v121, v121, 23, v122
	v_or3_b32 v119, v120, v121, v119
.LBB8_114:
	s_or_b64 exec, exec, s[2:3]
	s_movk_i32 s0, 0xff
	v_and_b32_sdwa v121, v92, s0 dst_sel:DWORD dst_unused:UNUSED_PAD src0_sel:WORD_1 src1_sel:DWORD
	s_movk_i32 s0, 0x7f
	v_cmp_lt_i16_e32 vcc, s0, v121
	s_mov_b64 s[0:1], 0
                                        ; implicit-def: $sgpr7
	s_and_saveexec_b64 s[2:3], vcc
	s_xor_b64 s[2:3], exec, s[2:3]
	s_cbranch_execnz .LBB8_627
; %bb.115:
	s_or_saveexec_b64 s[2:3], s[2:3]
	v_mov_b32_e32 v120, s7
	s_xor_b64 exec, exec, s[2:3]
	s_cbranch_execnz .LBB8_630
.LBB8_116:
	s_or_b64 exec, exec, s[2:3]
	s_and_saveexec_b64 s[2:3], s[0:1]
	s_cbranch_execz .LBB8_118
.LBB8_117:
	v_mov_b32_e32 v120, 7
	v_and_b32_sdwa v121, v92, v120 dst_sel:DWORD dst_unused:UNUSED_PAD src0_sel:WORD_1 src1_sel:DWORD
	v_ffbh_u32_e32 v123, v121
	v_mov_b32_e32 v122, 3
	v_min_u32_e32 v123, 32, v123
	v_lshrrev_b16_sdwa v122, v122, v92 dst_sel:DWORD dst_unused:UNUSED_PAD src0_sel:DWORD src1_sel:WORD_1
	v_subrev_u32_e32 v124, 28, v123
	v_and_b32_e32 v122, 15, v122
	v_lshlrev_b32_e32 v124, v124, v121
	v_sub_u32_e32 v123, 29, v123
	v_and_b32_e32 v124, 7, v124
	v_cmp_eq_u16_e32 vcc, 0, v122
	v_lshrrev_b16_sdwa v120, v120, v92 dst_sel:DWORD dst_unused:UNUSED_PAD src0_sel:DWORD src1_sel:WORD_1
	v_cndmask_b32_e32 v121, v121, v124, vcc
	v_cndmask_b32_e32 v122, v122, v123, vcc
	v_mov_b32_e32 v123, 0x3b800000
	v_lshlrev_b32_e32 v121, 20, v121
	v_lshlrev_b32_e32 v120, 31, v120
	v_lshl_add_u32 v122, v122, 23, v123
	v_or3_b32 v120, v120, v122, v121
.LBB8_118:
	s_or_b64 exec, exec, s[2:3]
	v_mov_b32_e32 v121, 8
	v_lshrrev_b16_sdwa v122, v121, v92 dst_sel:DWORD dst_unused:UNUSED_PAD src0_sel:DWORD src1_sel:WORD_1
	s_movk_i32 s0, 0x7f
	v_cmp_lt_i16_e32 vcc, s0, v122
	s_mov_b64 s[0:1], 0
                                        ; implicit-def: $sgpr7
	s_and_saveexec_b64 s[2:3], vcc
	s_xor_b64 s[2:3], exec, s[2:3]
	s_cbranch_execnz .LBB8_631
; %bb.119:
	s_or_saveexec_b64 s[2:3], s[2:3]
	v_mov_b32_e32 v121, s7
	s_xor_b64 exec, exec, s[2:3]
	s_cbranch_execnz .LBB8_634
.LBB8_120:
	s_or_b64 exec, exec, s[2:3]
	s_and_saveexec_b64 s[2:3], s[0:1]
	s_cbranch_execz .LBB8_122
.LBB8_121:
	v_mov_b32_e32 v121, 8
	v_lshrrev_b16_sdwa v121, v121, v92 dst_sel:DWORD dst_unused:UNUSED_PAD src0_sel:DWORD src1_sel:WORD_1
	v_and_b32_e32 v121, 7, v121
	v_mov_b32_e32 v122, 15
	v_mov_b32_e32 v123, 11
	v_lshrrev_b16_sdwa v122, v122, v92 dst_sel:DWORD dst_unused:UNUSED_PAD src0_sel:DWORD src1_sel:WORD_1
	v_lshrrev_b16_sdwa v92, v123, v92 dst_sel:DWORD dst_unused:UNUSED_PAD src0_sel:DWORD src1_sel:WORD_1
	v_ffbh_u32_e32 v123, v121
	v_min_u32_e32 v123, 32, v123
	v_subrev_u32_e32 v124, 28, v123
	v_and_b32_e32 v92, 15, v92
	v_lshlrev_b32_e32 v124, v124, v121
	v_sub_u32_e32 v123, 29, v123
	v_and_b32_e32 v124, 7, v124
	v_cmp_eq_u16_e32 vcc, 0, v92
	v_cndmask_b32_e32 v121, v121, v124, vcc
	v_cndmask_b32_e32 v92, v92, v123, vcc
	v_mov_b32_e32 v123, 0x3b800000
	v_lshlrev_b32_e32 v121, 20, v121
	v_lshlrev_b32_e32 v122, 31, v122
	v_lshl_add_u32 v92, v92, 23, v123
	v_or3_b32 v121, v122, v92, v121
.LBB8_122:
	s_or_b64 exec, exec, s[2:3]
	s_movk_i32 s0, 0x7f
	v_cmp_gt_i16_sdwa s[2:3], v93, s0 src0_sel:BYTE_0 src1_sel:DWORD
	s_mov_b64 s[0:1], 0
                                        ; implicit-def: $sgpr7
	s_and_saveexec_b64 s[4:5], s[2:3]
	s_xor_b64 s[2:3], exec, s[4:5]
	s_cbranch_execnz .LBB8_635
; %bb.123:
	s_or_saveexec_b64 s[2:3], s[2:3]
	v_mov_b32_e32 v92, s7
	s_xor_b64 exec, exec, s[2:3]
	s_cbranch_execnz .LBB8_638
.LBB8_124:
	s_or_b64 exec, exec, s[2:3]
	s_and_saveexec_b64 s[2:3], s[0:1]
	s_cbranch_execz .LBB8_126
.LBB8_125:
	v_and_b32_e32 v92, 7, v93
	v_ffbh_u32_e32 v124, v92
	v_min_u32_e32 v124, 32, v124
	v_lshrrev_b16_e32 v123, 3, v93
	v_subrev_u32_e32 v125, 28, v124
	v_and_b32_e32 v123, 15, v123
	v_lshlrev_b32_e32 v125, v125, v92
	v_sub_u32_e32 v124, 29, v124
	v_and_b32_e32 v125, 7, v125
	v_cmp_eq_u16_e32 vcc, 0, v123
	v_lshrrev_b16_e32 v122, 7, v93
	v_cndmask_b32_e32 v92, v92, v125, vcc
	v_cndmask_b32_e32 v123, v123, v124, vcc
	v_mov_b32_e32 v124, 0x3b800000
	v_lshlrev_b32_e32 v92, 20, v92
	v_lshlrev_b32_e32 v122, 31, v122
	v_lshl_add_u32 v123, v123, 23, v124
	v_or3_b32 v92, v122, v123, v92
.LBB8_126:
	s_or_b64 exec, exec, s[2:3]
	s_movk_i32 s0, 0x7f
	v_cmp_gt_i16_sdwa s[2:3], v93, s0 src0_sel:BYTE_1 src1_sel:DWORD
	s_mov_b64 s[0:1], 0
                                        ; implicit-def: $sgpr7
	s_and_saveexec_b64 s[4:5], s[2:3]
	s_xor_b64 s[2:3], exec, s[4:5]
	s_cbranch_execnz .LBB8_639
; %bb.127:
	s_or_saveexec_b64 s[2:3], s[2:3]
	v_mov_b32_e32 v122, s7
	s_xor_b64 exec, exec, s[2:3]
	s_cbranch_execnz .LBB8_642
.LBB8_128:
	s_or_b64 exec, exec, s[2:3]
	s_and_saveexec_b64 s[2:3], s[0:1]
	s_cbranch_execz .LBB8_130
.LBB8_129:
	v_mov_b32_e32 v122, 7
	v_and_b32_sdwa v122, v93, v122 dst_sel:DWORD dst_unused:UNUSED_PAD src0_sel:BYTE_1 src1_sel:DWORD
	v_ffbh_u32_e32 v125, v122
	v_min_u32_e32 v125, 32, v125
	v_lshrrev_b16_e32 v124, 11, v93
	v_subrev_u32_e32 v126, 28, v125
	v_and_b32_e32 v124, 15, v124
	v_lshlrev_b32_e32 v126, v126, v122
	v_sub_u32_e32 v125, 29, v125
	v_and_b32_e32 v126, 7, v126
	v_cmp_eq_u16_e32 vcc, 0, v124
	v_lshrrev_b16_e32 v123, 15, v93
	v_cndmask_b32_e32 v122, v122, v126, vcc
	v_cndmask_b32_e32 v124, v124, v125, vcc
	v_mov_b32_e32 v125, 0x3b800000
	v_lshlrev_b32_e32 v122, 20, v122
	v_lshlrev_b32_e32 v123, 31, v123
	v_lshl_add_u32 v124, v124, 23, v125
	v_or3_b32 v122, v123, v124, v122
.LBB8_130:
	s_or_b64 exec, exec, s[2:3]
	s_movk_i32 s0, 0xff
	v_and_b32_sdwa v124, v93, s0 dst_sel:DWORD dst_unused:UNUSED_PAD src0_sel:WORD_1 src1_sel:DWORD
	s_movk_i32 s0, 0x7f
	v_cmp_lt_i16_e32 vcc, s0, v124
	s_mov_b64 s[0:1], 0
                                        ; implicit-def: $sgpr7
	s_and_saveexec_b64 s[2:3], vcc
	s_xor_b64 s[2:3], exec, s[2:3]
	s_cbranch_execnz .LBB8_643
; %bb.131:
	s_or_saveexec_b64 s[2:3], s[2:3]
	v_mov_b32_e32 v123, s7
	s_xor_b64 exec, exec, s[2:3]
	s_cbranch_execnz .LBB8_646
.LBB8_132:
	s_or_b64 exec, exec, s[2:3]
	s_and_saveexec_b64 s[2:3], s[0:1]
	s_cbranch_execz .LBB8_134
.LBB8_133:
	v_mov_b32_e32 v123, 7
	v_and_b32_sdwa v124, v93, v123 dst_sel:DWORD dst_unused:UNUSED_PAD src0_sel:WORD_1 src1_sel:DWORD
	v_ffbh_u32_e32 v126, v124
	v_mov_b32_e32 v125, 3
	v_min_u32_e32 v126, 32, v126
	v_lshrrev_b16_sdwa v125, v125, v93 dst_sel:DWORD dst_unused:UNUSED_PAD src0_sel:DWORD src1_sel:WORD_1
	v_subrev_u32_e32 v127, 28, v126
	v_and_b32_e32 v125, 15, v125
	v_lshlrev_b32_e32 v127, v127, v124
	v_sub_u32_e32 v126, 29, v126
	v_and_b32_e32 v127, 7, v127
	v_cmp_eq_u16_e32 vcc, 0, v125
	v_lshrrev_b16_sdwa v123, v123, v93 dst_sel:DWORD dst_unused:UNUSED_PAD src0_sel:DWORD src1_sel:WORD_1
	v_cndmask_b32_e32 v124, v124, v127, vcc
	v_cndmask_b32_e32 v125, v125, v126, vcc
	v_mov_b32_e32 v126, 0x3b800000
	v_lshlrev_b32_e32 v124, 20, v124
	v_lshlrev_b32_e32 v123, 31, v123
	v_lshl_add_u32 v125, v125, 23, v126
	v_or3_b32 v123, v123, v125, v124
.LBB8_134:
	s_or_b64 exec, exec, s[2:3]
	v_mov_b32_e32 v124, 8
	v_lshrrev_b16_sdwa v125, v124, v93 dst_sel:DWORD dst_unused:UNUSED_PAD src0_sel:DWORD src1_sel:WORD_1
	s_movk_i32 s0, 0x7f
	v_cmp_lt_i16_e32 vcc, s0, v125
	s_mov_b64 s[0:1], 0
                                        ; implicit-def: $sgpr7
	s_and_saveexec_b64 s[2:3], vcc
	s_xor_b64 s[2:3], exec, s[2:3]
	s_cbranch_execnz .LBB8_647
; %bb.135:
	s_or_saveexec_b64 s[2:3], s[2:3]
	v_mov_b32_e32 v124, s7
	s_xor_b64 exec, exec, s[2:3]
	s_cbranch_execnz .LBB8_650
.LBB8_136:
	s_or_b64 exec, exec, s[2:3]
	s_and_saveexec_b64 s[2:3], s[0:1]
	s_cbranch_execz .LBB8_138
.LBB8_137:
	v_mov_b32_e32 v124, 8
	v_lshrrev_b16_sdwa v124, v124, v93 dst_sel:DWORD dst_unused:UNUSED_PAD src0_sel:DWORD src1_sel:WORD_1
	v_and_b32_e32 v124, 7, v124
	v_mov_b32_e32 v125, 15
	v_mov_b32_e32 v126, 11
	v_lshrrev_b16_sdwa v125, v125, v93 dst_sel:DWORD dst_unused:UNUSED_PAD src0_sel:DWORD src1_sel:WORD_1
	v_lshrrev_b16_sdwa v93, v126, v93 dst_sel:DWORD dst_unused:UNUSED_PAD src0_sel:DWORD src1_sel:WORD_1
	v_ffbh_u32_e32 v126, v124
	v_min_u32_e32 v126, 32, v126
	v_subrev_u32_e32 v127, 28, v126
	v_and_b32_e32 v93, 15, v93
	v_lshlrev_b32_e32 v127, v127, v124
	v_sub_u32_e32 v126, 29, v126
	v_and_b32_e32 v127, 7, v127
	v_cmp_eq_u16_e32 vcc, 0, v93
	v_cndmask_b32_e32 v124, v124, v127, vcc
	v_cndmask_b32_e32 v93, v93, v126, vcc
	v_mov_b32_e32 v126, 0x3b800000
	v_lshlrev_b32_e32 v124, 20, v124
	v_lshlrev_b32_e32 v125, 31, v125
	v_lshl_add_u32 v93, v93, 23, v126
	v_or3_b32 v124, v125, v93, v124
.LBB8_138:
	s_or_b64 exec, exec, s[2:3]
	s_movk_i32 s0, 0x7f
	v_cmp_gt_i16_sdwa s[2:3], v86, s0 src0_sel:BYTE_0 src1_sel:DWORD
	s_mov_b64 s[0:1], 0
                                        ; implicit-def: $sgpr7
	s_and_saveexec_b64 s[4:5], s[2:3]
	s_xor_b64 s[2:3], exec, s[4:5]
	s_cbranch_execnz .LBB8_651
; %bb.139:
	s_or_saveexec_b64 s[2:3], s[2:3]
	v_mov_b32_e32 v93, s7
	s_xor_b64 exec, exec, s[2:3]
	s_cbranch_execnz .LBB8_654
.LBB8_140:
	s_or_b64 exec, exec, s[2:3]
	s_and_saveexec_b64 s[2:3], s[0:1]
	s_cbranch_execz .LBB8_142
.LBB8_141:
	v_and_b32_e32 v93, 7, v86
	v_ffbh_u32_e32 v127, v93
	v_min_u32_e32 v127, 32, v127
	v_lshrrev_b16_e32 v126, 3, v86
	v_subrev_u32_e32 v128, 28, v127
	v_and_b32_e32 v126, 15, v126
	v_lshlrev_b32_e32 v128, v128, v93
	v_sub_u32_e32 v127, 29, v127
	v_and_b32_e32 v128, 7, v128
	v_cmp_eq_u16_e32 vcc, 0, v126
	v_lshrrev_b16_e32 v125, 7, v86
	v_cndmask_b32_e32 v93, v93, v128, vcc
	v_cndmask_b32_e32 v126, v126, v127, vcc
	v_mov_b32_e32 v127, 0x3b800000
	v_lshlrev_b32_e32 v93, 20, v93
	v_lshlrev_b32_e32 v125, 31, v125
	v_lshl_add_u32 v126, v126, 23, v127
	v_or3_b32 v93, v125, v126, v93
.LBB8_142:
	s_or_b64 exec, exec, s[2:3]
	s_movk_i32 s0, 0x7f
	v_cmp_gt_i16_sdwa s[2:3], v86, s0 src0_sel:BYTE_1 src1_sel:DWORD
	s_mov_b64 s[0:1], 0
                                        ; implicit-def: $sgpr7
	s_and_saveexec_b64 s[4:5], s[2:3]
	s_xor_b64 s[2:3], exec, s[4:5]
	s_cbranch_execnz .LBB8_655
; %bb.143:
	s_or_saveexec_b64 s[2:3], s[2:3]
	v_mov_b32_e32 v125, s7
	s_xor_b64 exec, exec, s[2:3]
	s_cbranch_execnz .LBB8_658
.LBB8_144:
	s_or_b64 exec, exec, s[2:3]
	s_and_saveexec_b64 s[2:3], s[0:1]
	s_cbranch_execz .LBB8_146
.LBB8_145:
	v_mov_b32_e32 v125, 7
	v_and_b32_sdwa v125, v86, v125 dst_sel:DWORD dst_unused:UNUSED_PAD src0_sel:BYTE_1 src1_sel:DWORD
	v_ffbh_u32_e32 v128, v125
	v_min_u32_e32 v128, 32, v128
	v_lshrrev_b16_e32 v127, 11, v86
	v_subrev_u32_e32 v129, 28, v128
	v_and_b32_e32 v127, 15, v127
	v_lshlrev_b32_e32 v129, v129, v125
	v_sub_u32_e32 v128, 29, v128
	v_and_b32_e32 v129, 7, v129
	v_cmp_eq_u16_e32 vcc, 0, v127
	v_lshrrev_b16_e32 v126, 15, v86
	v_cndmask_b32_e32 v125, v125, v129, vcc
	v_cndmask_b32_e32 v127, v127, v128, vcc
	v_mov_b32_e32 v128, 0x3b800000
	v_lshlrev_b32_e32 v125, 20, v125
	v_lshlrev_b32_e32 v126, 31, v126
	v_lshl_add_u32 v127, v127, 23, v128
	v_or3_b32 v125, v126, v127, v125
.LBB8_146:
	s_or_b64 exec, exec, s[2:3]
	s_movk_i32 s0, 0xff
	v_and_b32_sdwa v127, v86, s0 dst_sel:DWORD dst_unused:UNUSED_PAD src0_sel:WORD_1 src1_sel:DWORD
	s_movk_i32 s0, 0x7f
	v_cmp_lt_i16_e32 vcc, s0, v127
	s_mov_b64 s[0:1], 0
                                        ; implicit-def: $sgpr7
	s_and_saveexec_b64 s[2:3], vcc
	s_xor_b64 s[2:3], exec, s[2:3]
	s_cbranch_execnz .LBB8_659
; %bb.147:
	s_or_saveexec_b64 s[2:3], s[2:3]
	v_mov_b32_e32 v126, s7
	s_xor_b64 exec, exec, s[2:3]
	s_cbranch_execnz .LBB8_662
.LBB8_148:
	s_or_b64 exec, exec, s[2:3]
	s_and_saveexec_b64 s[2:3], s[0:1]
	s_cbranch_execz .LBB8_150
.LBB8_149:
	v_mov_b32_e32 v126, 7
	v_and_b32_sdwa v127, v86, v126 dst_sel:DWORD dst_unused:UNUSED_PAD src0_sel:WORD_1 src1_sel:DWORD
	v_ffbh_u32_e32 v129, v127
	v_mov_b32_e32 v128, 3
	v_min_u32_e32 v129, 32, v129
	v_lshrrev_b16_sdwa v128, v128, v86 dst_sel:DWORD dst_unused:UNUSED_PAD src0_sel:DWORD src1_sel:WORD_1
	v_subrev_u32_e32 v130, 28, v129
	v_and_b32_e32 v128, 15, v128
	v_lshlrev_b32_e32 v130, v130, v127
	v_sub_u32_e32 v129, 29, v129
	v_and_b32_e32 v130, 7, v130
	v_cmp_eq_u16_e32 vcc, 0, v128
	v_lshrrev_b16_sdwa v126, v126, v86 dst_sel:DWORD dst_unused:UNUSED_PAD src0_sel:DWORD src1_sel:WORD_1
	v_cndmask_b32_e32 v127, v127, v130, vcc
	v_cndmask_b32_e32 v128, v128, v129, vcc
	v_mov_b32_e32 v129, 0x3b800000
	v_lshlrev_b32_e32 v127, 20, v127
	v_lshlrev_b32_e32 v126, 31, v126
	v_lshl_add_u32 v128, v128, 23, v129
	v_or3_b32 v126, v126, v128, v127
.LBB8_150:
	s_or_b64 exec, exec, s[2:3]
	v_mov_b32_e32 v127, 8
	v_lshrrev_b16_sdwa v128, v127, v86 dst_sel:DWORD dst_unused:UNUSED_PAD src0_sel:DWORD src1_sel:WORD_1
	s_movk_i32 s0, 0x7f
	v_cmp_lt_i16_e32 vcc, s0, v128
	s_mov_b64 s[0:1], 0
                                        ; implicit-def: $sgpr7
	s_and_saveexec_b64 s[2:3], vcc
	s_xor_b64 s[2:3], exec, s[2:3]
	s_cbranch_execnz .LBB8_663
; %bb.151:
	s_or_saveexec_b64 s[2:3], s[2:3]
	v_mov_b32_e32 v127, s7
	s_xor_b64 exec, exec, s[2:3]
	s_cbranch_execnz .LBB8_666
.LBB8_152:
	s_or_b64 exec, exec, s[2:3]
	s_and_saveexec_b64 s[2:3], s[0:1]
	s_cbranch_execz .LBB8_154
.LBB8_153:
	v_mov_b32_e32 v127, 8
	v_lshrrev_b16_sdwa v127, v127, v86 dst_sel:DWORD dst_unused:UNUSED_PAD src0_sel:DWORD src1_sel:WORD_1
	v_and_b32_e32 v127, 7, v127
	v_mov_b32_e32 v128, 15
	v_mov_b32_e32 v129, 11
	v_lshrrev_b16_sdwa v128, v128, v86 dst_sel:DWORD dst_unused:UNUSED_PAD src0_sel:DWORD src1_sel:WORD_1
	v_lshrrev_b16_sdwa v86, v129, v86 dst_sel:DWORD dst_unused:UNUSED_PAD src0_sel:DWORD src1_sel:WORD_1
	v_ffbh_u32_e32 v129, v127
	v_min_u32_e32 v129, 32, v129
	v_subrev_u32_e32 v130, 28, v129
	v_and_b32_e32 v86, 15, v86
	v_lshlrev_b32_e32 v130, v130, v127
	v_sub_u32_e32 v129, 29, v129
	v_and_b32_e32 v130, 7, v130
	v_cmp_eq_u16_e32 vcc, 0, v86
	v_cndmask_b32_e32 v127, v127, v130, vcc
	v_cndmask_b32_e32 v86, v86, v129, vcc
	v_mov_b32_e32 v129, 0x3b800000
	v_lshlrev_b32_e32 v127, 20, v127
	v_lshlrev_b32_e32 v128, 31, v128
	v_lshl_add_u32 v86, v86, 23, v129
	v_or3_b32 v127, v128, v86, v127
.LBB8_154:
	s_or_b64 exec, exec, s[2:3]
	s_movk_i32 s0, 0x7f
	v_cmp_gt_i16_sdwa s[2:3], v87, s0 src0_sel:BYTE_0 src1_sel:DWORD
	s_mov_b64 s[0:1], 0
                                        ; implicit-def: $sgpr7
	s_and_saveexec_b64 s[4:5], s[2:3]
	s_xor_b64 s[2:3], exec, s[4:5]
	s_cbranch_execnz .LBB8_667
; %bb.155:
	s_or_saveexec_b64 s[2:3], s[2:3]
	v_mov_b32_e32 v86, s7
	s_xor_b64 exec, exec, s[2:3]
	s_cbranch_execnz .LBB8_670
.LBB8_156:
	s_or_b64 exec, exec, s[2:3]
	s_and_saveexec_b64 s[2:3], s[0:1]
	s_cbranch_execz .LBB8_158
.LBB8_157:
	v_and_b32_e32 v86, 7, v87
	v_ffbh_u32_e32 v130, v86
	v_min_u32_e32 v130, 32, v130
	v_lshrrev_b16_e32 v129, 3, v87
	v_subrev_u32_e32 v131, 28, v130
	v_and_b32_e32 v129, 15, v129
	v_lshlrev_b32_e32 v131, v131, v86
	v_sub_u32_e32 v130, 29, v130
	v_and_b32_e32 v131, 7, v131
	v_cmp_eq_u16_e32 vcc, 0, v129
	v_lshrrev_b16_e32 v128, 7, v87
	v_cndmask_b32_e32 v86, v86, v131, vcc
	v_cndmask_b32_e32 v129, v129, v130, vcc
	v_mov_b32_e32 v130, 0x3b800000
	v_lshlrev_b32_e32 v86, 20, v86
	v_lshlrev_b32_e32 v128, 31, v128
	v_lshl_add_u32 v129, v129, 23, v130
	v_or3_b32 v86, v128, v129, v86
.LBB8_158:
	s_or_b64 exec, exec, s[2:3]
	s_movk_i32 s0, 0x7f
	v_cmp_gt_i16_sdwa s[2:3], v87, s0 src0_sel:BYTE_1 src1_sel:DWORD
	s_mov_b64 s[0:1], 0
                                        ; implicit-def: $sgpr7
	s_and_saveexec_b64 s[4:5], s[2:3]
	s_xor_b64 s[2:3], exec, s[4:5]
	s_cbranch_execnz .LBB8_671
; %bb.159:
	s_or_saveexec_b64 s[2:3], s[2:3]
	v_mov_b32_e32 v128, s7
	s_xor_b64 exec, exec, s[2:3]
	s_cbranch_execnz .LBB8_674
.LBB8_160:
	s_or_b64 exec, exec, s[2:3]
	s_and_saveexec_b64 s[2:3], s[0:1]
	s_cbranch_execz .LBB8_162
.LBB8_161:
	v_mov_b32_e32 v128, 7
	v_and_b32_sdwa v128, v87, v128 dst_sel:DWORD dst_unused:UNUSED_PAD src0_sel:BYTE_1 src1_sel:DWORD
	v_ffbh_u32_e32 v131, v128
	v_min_u32_e32 v131, 32, v131
	v_lshrrev_b16_e32 v130, 11, v87
	v_subrev_u32_e32 v132, 28, v131
	v_and_b32_e32 v130, 15, v130
	v_lshlrev_b32_e32 v132, v132, v128
	v_sub_u32_e32 v131, 29, v131
	v_and_b32_e32 v132, 7, v132
	v_cmp_eq_u16_e32 vcc, 0, v130
	v_lshrrev_b16_e32 v129, 15, v87
	v_cndmask_b32_e32 v128, v128, v132, vcc
	v_cndmask_b32_e32 v130, v130, v131, vcc
	v_mov_b32_e32 v131, 0x3b800000
	v_lshlrev_b32_e32 v128, 20, v128
	v_lshlrev_b32_e32 v129, 31, v129
	v_lshl_add_u32 v130, v130, 23, v131
	v_or3_b32 v128, v129, v130, v128
.LBB8_162:
	s_or_b64 exec, exec, s[2:3]
	s_movk_i32 s0, 0xff
	v_and_b32_sdwa v130, v87, s0 dst_sel:DWORD dst_unused:UNUSED_PAD src0_sel:WORD_1 src1_sel:DWORD
	s_movk_i32 s0, 0x7f
	v_cmp_lt_i16_e32 vcc, s0, v130
	s_mov_b64 s[0:1], 0
                                        ; implicit-def: $sgpr7
	s_and_saveexec_b64 s[2:3], vcc
	s_xor_b64 s[2:3], exec, s[2:3]
	s_cbranch_execnz .LBB8_675
; %bb.163:
	s_or_saveexec_b64 s[2:3], s[2:3]
	v_mov_b32_e32 v129, s7
	s_xor_b64 exec, exec, s[2:3]
	s_cbranch_execnz .LBB8_678
.LBB8_164:
	s_or_b64 exec, exec, s[2:3]
	s_and_saveexec_b64 s[2:3], s[0:1]
	s_cbranch_execz .LBB8_166
.LBB8_165:
	v_mov_b32_e32 v129, 7
	v_and_b32_sdwa v130, v87, v129 dst_sel:DWORD dst_unused:UNUSED_PAD src0_sel:WORD_1 src1_sel:DWORD
	v_ffbh_u32_e32 v132, v130
	v_mov_b32_e32 v131, 3
	v_min_u32_e32 v132, 32, v132
	v_lshrrev_b16_sdwa v131, v131, v87 dst_sel:DWORD dst_unused:UNUSED_PAD src0_sel:DWORD src1_sel:WORD_1
	v_subrev_u32_e32 v133, 28, v132
	v_and_b32_e32 v131, 15, v131
	v_lshlrev_b32_e32 v133, v133, v130
	v_sub_u32_e32 v132, 29, v132
	v_and_b32_e32 v133, 7, v133
	v_cmp_eq_u16_e32 vcc, 0, v131
	v_lshrrev_b16_sdwa v129, v129, v87 dst_sel:DWORD dst_unused:UNUSED_PAD src0_sel:DWORD src1_sel:WORD_1
	v_cndmask_b32_e32 v130, v130, v133, vcc
	v_cndmask_b32_e32 v131, v131, v132, vcc
	v_mov_b32_e32 v132, 0x3b800000
	v_lshlrev_b32_e32 v130, 20, v130
	v_lshlrev_b32_e32 v129, 31, v129
	v_lshl_add_u32 v131, v131, 23, v132
	v_or3_b32 v129, v129, v131, v130
.LBB8_166:
	s_or_b64 exec, exec, s[2:3]
	v_mov_b32_e32 v130, 8
	v_lshrrev_b16_sdwa v131, v130, v87 dst_sel:DWORD dst_unused:UNUSED_PAD src0_sel:DWORD src1_sel:WORD_1
	s_movk_i32 s0, 0x7f
	v_cmp_lt_i16_e32 vcc, s0, v131
	s_mov_b64 s[0:1], 0
                                        ; implicit-def: $sgpr7
	s_and_saveexec_b64 s[2:3], vcc
	s_xor_b64 s[2:3], exec, s[2:3]
	s_cbranch_execnz .LBB8_679
; %bb.167:
	s_or_saveexec_b64 s[2:3], s[2:3]
	v_mov_b32_e32 v130, s7
	s_xor_b64 exec, exec, s[2:3]
	s_cbranch_execnz .LBB8_682
.LBB8_168:
	s_or_b64 exec, exec, s[2:3]
	s_and_saveexec_b64 s[2:3], s[0:1]
	s_cbranch_execz .LBB8_170
.LBB8_169:
	v_mov_b32_e32 v130, 8
	v_lshrrev_b16_sdwa v130, v130, v87 dst_sel:DWORD dst_unused:UNUSED_PAD src0_sel:DWORD src1_sel:WORD_1
	v_and_b32_e32 v130, 7, v130
	v_mov_b32_e32 v131, 15
	v_mov_b32_e32 v132, 11
	v_lshrrev_b16_sdwa v131, v131, v87 dst_sel:DWORD dst_unused:UNUSED_PAD src0_sel:DWORD src1_sel:WORD_1
	v_lshrrev_b16_sdwa v87, v132, v87 dst_sel:DWORD dst_unused:UNUSED_PAD src0_sel:DWORD src1_sel:WORD_1
	v_ffbh_u32_e32 v132, v130
	v_min_u32_e32 v132, 32, v132
	v_subrev_u32_e32 v133, 28, v132
	v_and_b32_e32 v87, 15, v87
	v_lshlrev_b32_e32 v133, v133, v130
	v_sub_u32_e32 v132, 29, v132
	v_and_b32_e32 v133, 7, v133
	v_cmp_eq_u16_e32 vcc, 0, v87
	v_cndmask_b32_e32 v130, v130, v133, vcc
	v_cndmask_b32_e32 v87, v87, v132, vcc
	v_mov_b32_e32 v132, 0x3b800000
	v_lshlrev_b32_e32 v130, 20, v130
	v_lshlrev_b32_e32 v131, 31, v131
	v_lshl_add_u32 v87, v87, 23, v132
	v_or3_b32 v130, v131, v87, v130
.LBB8_170:
	s_or_b64 exec, exec, s[2:3]
	s_movk_i32 s0, 0x7f
	v_cmp_gt_i16_sdwa s[2:3], v88, s0 src0_sel:BYTE_0 src1_sel:DWORD
	s_mov_b64 s[0:1], 0
                                        ; implicit-def: $sgpr7
	s_and_saveexec_b64 s[4:5], s[2:3]
	s_xor_b64 s[2:3], exec, s[4:5]
	s_cbranch_execnz .LBB8_683
; %bb.171:
	s_or_saveexec_b64 s[2:3], s[2:3]
	v_mov_b32_e32 v87, s7
	s_xor_b64 exec, exec, s[2:3]
	s_cbranch_execnz .LBB8_686
.LBB8_172:
	s_or_b64 exec, exec, s[2:3]
	s_and_saveexec_b64 s[2:3], s[0:1]
	s_cbranch_execz .LBB8_174
.LBB8_173:
	v_and_b32_e32 v87, 7, v88
	v_ffbh_u32_e32 v133, v87
	v_min_u32_e32 v133, 32, v133
	v_lshrrev_b16_e32 v132, 3, v88
	v_subrev_u32_e32 v134, 28, v133
	v_and_b32_e32 v132, 15, v132
	v_lshlrev_b32_e32 v134, v134, v87
	v_sub_u32_e32 v133, 29, v133
	v_and_b32_e32 v134, 7, v134
	v_cmp_eq_u16_e32 vcc, 0, v132
	v_lshrrev_b16_e32 v131, 7, v88
	v_cndmask_b32_e32 v87, v87, v134, vcc
	v_cndmask_b32_e32 v132, v132, v133, vcc
	v_mov_b32_e32 v133, 0x3b800000
	v_lshlrev_b32_e32 v87, 20, v87
	v_lshlrev_b32_e32 v131, 31, v131
	v_lshl_add_u32 v132, v132, 23, v133
	v_or3_b32 v87, v131, v132, v87
.LBB8_174:
	s_or_b64 exec, exec, s[2:3]
	s_movk_i32 s0, 0x7f
	v_cmp_gt_i16_sdwa s[2:3], v88, s0 src0_sel:BYTE_1 src1_sel:DWORD
	s_mov_b64 s[0:1], 0
                                        ; implicit-def: $sgpr7
	s_and_saveexec_b64 s[4:5], s[2:3]
	s_xor_b64 s[2:3], exec, s[4:5]
	s_cbranch_execnz .LBB8_687
; %bb.175:
	s_or_saveexec_b64 s[2:3], s[2:3]
	v_mov_b32_e32 v131, s7
	s_xor_b64 exec, exec, s[2:3]
	s_cbranch_execnz .LBB8_690
.LBB8_176:
	s_or_b64 exec, exec, s[2:3]
	s_and_saveexec_b64 s[2:3], s[0:1]
	s_cbranch_execz .LBB8_178
.LBB8_177:
	v_mov_b32_e32 v131, 7
	v_and_b32_sdwa v131, v88, v131 dst_sel:DWORD dst_unused:UNUSED_PAD src0_sel:BYTE_1 src1_sel:DWORD
	v_ffbh_u32_e32 v134, v131
	v_min_u32_e32 v134, 32, v134
	v_lshrrev_b16_e32 v133, 11, v88
	v_subrev_u32_e32 v135, 28, v134
	v_and_b32_e32 v133, 15, v133
	v_lshlrev_b32_e32 v135, v135, v131
	v_sub_u32_e32 v134, 29, v134
	v_and_b32_e32 v135, 7, v135
	v_cmp_eq_u16_e32 vcc, 0, v133
	v_lshrrev_b16_e32 v132, 15, v88
	v_cndmask_b32_e32 v131, v131, v135, vcc
	v_cndmask_b32_e32 v133, v133, v134, vcc
	v_mov_b32_e32 v134, 0x3b800000
	v_lshlrev_b32_e32 v131, 20, v131
	v_lshlrev_b32_e32 v132, 31, v132
	v_lshl_add_u32 v133, v133, 23, v134
	v_or3_b32 v131, v132, v133, v131
.LBB8_178:
	s_or_b64 exec, exec, s[2:3]
	s_movk_i32 s0, 0xff
	v_and_b32_sdwa v133, v88, s0 dst_sel:DWORD dst_unused:UNUSED_PAD src0_sel:WORD_1 src1_sel:DWORD
	s_movk_i32 s0, 0x7f
	v_cmp_lt_i16_e32 vcc, s0, v133
	s_mov_b64 s[0:1], 0
                                        ; implicit-def: $sgpr7
	s_and_saveexec_b64 s[2:3], vcc
	s_xor_b64 s[2:3], exec, s[2:3]
	s_cbranch_execnz .LBB8_691
; %bb.179:
	s_or_saveexec_b64 s[2:3], s[2:3]
	v_mov_b32_e32 v132, s7
	s_xor_b64 exec, exec, s[2:3]
	s_cbranch_execnz .LBB8_694
.LBB8_180:
	s_or_b64 exec, exec, s[2:3]
	s_and_saveexec_b64 s[2:3], s[0:1]
	s_cbranch_execz .LBB8_182
.LBB8_181:
	v_mov_b32_e32 v132, 7
	v_and_b32_sdwa v133, v88, v132 dst_sel:DWORD dst_unused:UNUSED_PAD src0_sel:WORD_1 src1_sel:DWORD
	v_ffbh_u32_e32 v135, v133
	v_mov_b32_e32 v134, 3
	v_min_u32_e32 v135, 32, v135
	v_lshrrev_b16_sdwa v134, v134, v88 dst_sel:DWORD dst_unused:UNUSED_PAD src0_sel:DWORD src1_sel:WORD_1
	v_subrev_u32_e32 v136, 28, v135
	v_and_b32_e32 v134, 15, v134
	v_lshlrev_b32_e32 v136, v136, v133
	v_sub_u32_e32 v135, 29, v135
	v_and_b32_e32 v136, 7, v136
	v_cmp_eq_u16_e32 vcc, 0, v134
	v_lshrrev_b16_sdwa v132, v132, v88 dst_sel:DWORD dst_unused:UNUSED_PAD src0_sel:DWORD src1_sel:WORD_1
	v_cndmask_b32_e32 v133, v133, v136, vcc
	v_cndmask_b32_e32 v134, v134, v135, vcc
	v_mov_b32_e32 v135, 0x3b800000
	v_lshlrev_b32_e32 v133, 20, v133
	v_lshlrev_b32_e32 v132, 31, v132
	v_lshl_add_u32 v134, v134, 23, v135
	v_or3_b32 v132, v132, v134, v133
.LBB8_182:
	s_or_b64 exec, exec, s[2:3]
	v_mov_b32_e32 v133, 8
	v_lshrrev_b16_sdwa v134, v133, v88 dst_sel:DWORD dst_unused:UNUSED_PAD src0_sel:DWORD src1_sel:WORD_1
	s_movk_i32 s0, 0x7f
	v_cmp_lt_i16_e32 vcc, s0, v134
	s_mov_b64 s[0:1], 0
                                        ; implicit-def: $sgpr7
	s_and_saveexec_b64 s[2:3], vcc
	s_xor_b64 s[2:3], exec, s[2:3]
	s_cbranch_execnz .LBB8_695
; %bb.183:
	s_or_saveexec_b64 s[2:3], s[2:3]
	v_mov_b32_e32 v133, s7
	s_xor_b64 exec, exec, s[2:3]
	s_cbranch_execnz .LBB8_698
.LBB8_184:
	s_or_b64 exec, exec, s[2:3]
	s_and_saveexec_b64 s[2:3], s[0:1]
	s_cbranch_execz .LBB8_186
.LBB8_185:
	v_mov_b32_e32 v133, 8
	v_lshrrev_b16_sdwa v133, v133, v88 dst_sel:DWORD dst_unused:UNUSED_PAD src0_sel:DWORD src1_sel:WORD_1
	v_and_b32_e32 v133, 7, v133
	v_mov_b32_e32 v134, 15
	v_mov_b32_e32 v135, 11
	v_lshrrev_b16_sdwa v134, v134, v88 dst_sel:DWORD dst_unused:UNUSED_PAD src0_sel:DWORD src1_sel:WORD_1
	v_lshrrev_b16_sdwa v88, v135, v88 dst_sel:DWORD dst_unused:UNUSED_PAD src0_sel:DWORD src1_sel:WORD_1
	v_ffbh_u32_e32 v135, v133
	v_min_u32_e32 v135, 32, v135
	v_subrev_u32_e32 v136, 28, v135
	v_and_b32_e32 v88, 15, v88
	v_lshlrev_b32_e32 v136, v136, v133
	v_sub_u32_e32 v135, 29, v135
	v_and_b32_e32 v136, 7, v136
	v_cmp_eq_u16_e32 vcc, 0, v88
	v_cndmask_b32_e32 v133, v133, v136, vcc
	v_cndmask_b32_e32 v88, v88, v135, vcc
	v_mov_b32_e32 v135, 0x3b800000
	v_lshlrev_b32_e32 v133, 20, v133
	v_lshlrev_b32_e32 v134, 31, v134
	v_lshl_add_u32 v88, v88, 23, v135
	v_or3_b32 v133, v134, v88, v133
.LBB8_186:
	s_or_b64 exec, exec, s[2:3]
	s_movk_i32 s0, 0x7f
	v_cmp_gt_i16_sdwa s[2:3], v89, s0 src0_sel:BYTE_0 src1_sel:DWORD
	s_mov_b64 s[0:1], 0
                                        ; implicit-def: $sgpr7
	s_and_saveexec_b64 s[4:5], s[2:3]
	s_xor_b64 s[2:3], exec, s[4:5]
	s_cbranch_execnz .LBB8_699
; %bb.187:
	s_or_saveexec_b64 s[2:3], s[2:3]
	v_mov_b32_e32 v88, s7
	s_xor_b64 exec, exec, s[2:3]
	s_cbranch_execnz .LBB8_702
.LBB8_188:
	s_or_b64 exec, exec, s[2:3]
	s_and_saveexec_b64 s[2:3], s[0:1]
	s_cbranch_execz .LBB8_190
.LBB8_189:
	v_and_b32_e32 v88, 7, v89
	v_ffbh_u32_e32 v136, v88
	v_min_u32_e32 v136, 32, v136
	v_lshrrev_b16_e32 v135, 3, v89
	v_subrev_u32_e32 v137, 28, v136
	v_and_b32_e32 v135, 15, v135
	v_lshlrev_b32_e32 v137, v137, v88
	v_sub_u32_e32 v136, 29, v136
	v_and_b32_e32 v137, 7, v137
	v_cmp_eq_u16_e32 vcc, 0, v135
	v_lshrrev_b16_e32 v134, 7, v89
	v_cndmask_b32_e32 v88, v88, v137, vcc
	v_cndmask_b32_e32 v135, v135, v136, vcc
	v_mov_b32_e32 v136, 0x3b800000
	v_lshlrev_b32_e32 v88, 20, v88
	v_lshlrev_b32_e32 v134, 31, v134
	v_lshl_add_u32 v135, v135, 23, v136
	v_or3_b32 v88, v134, v135, v88
.LBB8_190:
	s_or_b64 exec, exec, s[2:3]
	s_movk_i32 s0, 0x7f
	v_cmp_gt_i16_sdwa s[2:3], v89, s0 src0_sel:BYTE_1 src1_sel:DWORD
	s_mov_b64 s[0:1], 0
                                        ; implicit-def: $sgpr7
	s_and_saveexec_b64 s[4:5], s[2:3]
	s_xor_b64 s[2:3], exec, s[4:5]
	s_cbranch_execnz .LBB8_703
; %bb.191:
	s_or_saveexec_b64 s[2:3], s[2:3]
	v_mov_b32_e32 v134, s7
	s_xor_b64 exec, exec, s[2:3]
	s_cbranch_execnz .LBB8_706
.LBB8_192:
	s_or_b64 exec, exec, s[2:3]
	s_and_saveexec_b64 s[2:3], s[0:1]
	s_cbranch_execz .LBB8_194
.LBB8_193:
	v_mov_b32_e32 v134, 7
	v_and_b32_sdwa v134, v89, v134 dst_sel:DWORD dst_unused:UNUSED_PAD src0_sel:BYTE_1 src1_sel:DWORD
	v_ffbh_u32_e32 v137, v134
	v_min_u32_e32 v137, 32, v137
	v_lshrrev_b16_e32 v136, 11, v89
	v_subrev_u32_e32 v138, 28, v137
	v_and_b32_e32 v136, 15, v136
	v_lshlrev_b32_e32 v138, v138, v134
	v_sub_u32_e32 v137, 29, v137
	v_and_b32_e32 v138, 7, v138
	v_cmp_eq_u16_e32 vcc, 0, v136
	v_lshrrev_b16_e32 v135, 15, v89
	v_cndmask_b32_e32 v134, v134, v138, vcc
	v_cndmask_b32_e32 v136, v136, v137, vcc
	v_mov_b32_e32 v137, 0x3b800000
	v_lshlrev_b32_e32 v134, 20, v134
	v_lshlrev_b32_e32 v135, 31, v135
	v_lshl_add_u32 v136, v136, 23, v137
	v_or3_b32 v134, v135, v136, v134
.LBB8_194:
	s_or_b64 exec, exec, s[2:3]
	s_movk_i32 s0, 0xff
	v_and_b32_sdwa v136, v89, s0 dst_sel:DWORD dst_unused:UNUSED_PAD src0_sel:WORD_1 src1_sel:DWORD
	s_movk_i32 s0, 0x7f
	v_cmp_lt_i16_e32 vcc, s0, v136
	s_mov_b64 s[0:1], 0
                                        ; implicit-def: $sgpr7
	s_and_saveexec_b64 s[2:3], vcc
	s_xor_b64 s[2:3], exec, s[2:3]
	s_cbranch_execnz .LBB8_707
; %bb.195:
	s_or_saveexec_b64 s[2:3], s[2:3]
	v_mov_b32_e32 v135, s7
	s_xor_b64 exec, exec, s[2:3]
	s_cbranch_execnz .LBB8_710
.LBB8_196:
	s_or_b64 exec, exec, s[2:3]
	s_and_saveexec_b64 s[2:3], s[0:1]
	s_cbranch_execz .LBB8_198
.LBB8_197:
	v_mov_b32_e32 v135, 7
	v_and_b32_sdwa v136, v89, v135 dst_sel:DWORD dst_unused:UNUSED_PAD src0_sel:WORD_1 src1_sel:DWORD
	v_ffbh_u32_e32 v138, v136
	v_mov_b32_e32 v137, 3
	v_min_u32_e32 v138, 32, v138
	v_lshrrev_b16_sdwa v137, v137, v89 dst_sel:DWORD dst_unused:UNUSED_PAD src0_sel:DWORD src1_sel:WORD_1
	v_subrev_u32_e32 v139, 28, v138
	v_and_b32_e32 v137, 15, v137
	v_lshlrev_b32_e32 v139, v139, v136
	v_sub_u32_e32 v138, 29, v138
	v_and_b32_e32 v139, 7, v139
	v_cmp_eq_u16_e32 vcc, 0, v137
	v_lshrrev_b16_sdwa v135, v135, v89 dst_sel:DWORD dst_unused:UNUSED_PAD src0_sel:DWORD src1_sel:WORD_1
	v_cndmask_b32_e32 v136, v136, v139, vcc
	v_cndmask_b32_e32 v137, v137, v138, vcc
	v_mov_b32_e32 v138, 0x3b800000
	v_lshlrev_b32_e32 v136, 20, v136
	v_lshlrev_b32_e32 v135, 31, v135
	v_lshl_add_u32 v137, v137, 23, v138
	v_or3_b32 v135, v135, v137, v136
.LBB8_198:
	s_or_b64 exec, exec, s[2:3]
	v_mov_b32_e32 v136, 8
	v_lshrrev_b16_sdwa v137, v136, v89 dst_sel:DWORD dst_unused:UNUSED_PAD src0_sel:DWORD src1_sel:WORD_1
	s_movk_i32 s0, 0x7f
	v_cmp_lt_i16_e32 vcc, s0, v137
	s_mov_b64 s[0:1], 0
                                        ; implicit-def: $sgpr7
	s_and_saveexec_b64 s[2:3], vcc
	s_xor_b64 s[2:3], exec, s[2:3]
	s_cbranch_execnz .LBB8_711
; %bb.199:
	s_or_saveexec_b64 s[2:3], s[2:3]
	v_mov_b32_e32 v136, s7
	s_xor_b64 exec, exec, s[2:3]
	s_cbranch_execnz .LBB8_714
.LBB8_200:
	s_or_b64 exec, exec, s[2:3]
	s_and_saveexec_b64 s[2:3], s[0:1]
	s_cbranch_execz .LBB8_202
.LBB8_201:
	v_mov_b32_e32 v136, 8
	v_lshrrev_b16_sdwa v136, v136, v89 dst_sel:DWORD dst_unused:UNUSED_PAD src0_sel:DWORD src1_sel:WORD_1
	v_and_b32_e32 v136, 7, v136
	v_mov_b32_e32 v137, 15
	v_mov_b32_e32 v138, 11
	v_lshrrev_b16_sdwa v137, v137, v89 dst_sel:DWORD dst_unused:UNUSED_PAD src0_sel:DWORD src1_sel:WORD_1
	v_lshrrev_b16_sdwa v89, v138, v89 dst_sel:DWORD dst_unused:UNUSED_PAD src0_sel:DWORD src1_sel:WORD_1
	v_ffbh_u32_e32 v138, v136
	v_min_u32_e32 v138, 32, v138
	v_subrev_u32_e32 v139, 28, v138
	v_and_b32_e32 v89, 15, v89
	v_lshlrev_b32_e32 v139, v139, v136
	v_sub_u32_e32 v138, 29, v138
	v_and_b32_e32 v139, 7, v139
	v_cmp_eq_u16_e32 vcc, 0, v89
	v_cndmask_b32_e32 v136, v136, v139, vcc
	v_cndmask_b32_e32 v89, v89, v138, vcc
	v_mov_b32_e32 v138, 0x3b800000
	v_lshlrev_b32_e32 v136, 20, v136
	v_lshlrev_b32_e32 v137, 31, v137
	v_lshl_add_u32 v89, v89, 23, v138
	v_or3_b32 v136, v137, v89, v136
.LBB8_202:
	s_or_b64 exec, exec, s[2:3]
	s_movk_i32 s0, 0x7f
	s_waitcnt lgkmcnt(11)
	v_cmp_gt_i16_sdwa s[2:3], v82, s0 src0_sel:BYTE_0 src1_sel:DWORD
	s_mov_b64 s[0:1], 0
                                        ; implicit-def: $sgpr7
	s_and_saveexec_b64 s[4:5], s[2:3]
	s_xor_b64 s[2:3], exec, s[4:5]
	s_cbranch_execnz .LBB8_715
; %bb.203:
	s_or_saveexec_b64 s[2:3], s[2:3]
	v_mov_b32_e32 v89, s7
	s_xor_b64 exec, exec, s[2:3]
	s_cbranch_execnz .LBB8_718
.LBB8_204:
	s_or_b64 exec, exec, s[2:3]
	s_and_saveexec_b64 s[2:3], s[0:1]
	s_cbranch_execz .LBB8_206
.LBB8_205:
	v_and_b32_e32 v89, 7, v82
	v_ffbh_u32_e32 v139, v89
	v_min_u32_e32 v139, 32, v139
	v_lshrrev_b16_e32 v138, 3, v82
	v_subrev_u32_e32 v140, 28, v139
	v_and_b32_e32 v138, 15, v138
	v_lshlrev_b32_e32 v140, v140, v89
	v_sub_u32_e32 v139, 29, v139
	v_and_b32_e32 v140, 7, v140
	v_cmp_eq_u16_e32 vcc, 0, v138
	v_lshrrev_b16_e32 v137, 7, v82
	v_cndmask_b32_e32 v89, v89, v140, vcc
	v_cndmask_b32_e32 v138, v138, v139, vcc
	v_mov_b32_e32 v139, 0x3b800000
	v_lshlrev_b32_e32 v89, 20, v89
	v_lshlrev_b32_e32 v137, 31, v137
	v_lshl_add_u32 v138, v138, 23, v139
	v_or3_b32 v89, v137, v138, v89
.LBB8_206:
	s_or_b64 exec, exec, s[2:3]
	s_movk_i32 s0, 0x7f
	v_cmp_gt_i16_sdwa s[2:3], v82, s0 src0_sel:BYTE_1 src1_sel:DWORD
	s_mov_b64 s[0:1], 0
                                        ; implicit-def: $sgpr7
	s_and_saveexec_b64 s[4:5], s[2:3]
	s_xor_b64 s[2:3], exec, s[4:5]
	s_cbranch_execnz .LBB8_719
; %bb.207:
	s_or_saveexec_b64 s[2:3], s[2:3]
	v_mov_b32_e32 v137, s7
	s_xor_b64 exec, exec, s[2:3]
	s_cbranch_execnz .LBB8_722
.LBB8_208:
	s_or_b64 exec, exec, s[2:3]
	s_and_saveexec_b64 s[2:3], s[0:1]
	s_cbranch_execz .LBB8_210
.LBB8_209:
	v_mov_b32_e32 v137, 7
	v_and_b32_sdwa v137, v82, v137 dst_sel:DWORD dst_unused:UNUSED_PAD src0_sel:BYTE_1 src1_sel:DWORD
	v_ffbh_u32_e32 v140, v137
	v_min_u32_e32 v140, 32, v140
	v_lshrrev_b16_e32 v139, 11, v82
	v_subrev_u32_e32 v141, 28, v140
	v_and_b32_e32 v139, 15, v139
	v_lshlrev_b32_e32 v141, v141, v137
	v_sub_u32_e32 v140, 29, v140
	v_and_b32_e32 v141, 7, v141
	v_cmp_eq_u16_e32 vcc, 0, v139
	v_lshrrev_b16_e32 v138, 15, v82
	v_cndmask_b32_e32 v137, v137, v141, vcc
	v_cndmask_b32_e32 v139, v139, v140, vcc
	v_mov_b32_e32 v140, 0x3b800000
	v_lshlrev_b32_e32 v137, 20, v137
	v_lshlrev_b32_e32 v138, 31, v138
	v_lshl_add_u32 v139, v139, 23, v140
	v_or3_b32 v137, v138, v139, v137
.LBB8_210:
	s_or_b64 exec, exec, s[2:3]
	s_movk_i32 s0, 0xff
	v_and_b32_sdwa v139, v82, s0 dst_sel:DWORD dst_unused:UNUSED_PAD src0_sel:WORD_1 src1_sel:DWORD
	s_movk_i32 s0, 0x7f
	v_cmp_lt_i16_e32 vcc, s0, v139
	s_mov_b64 s[0:1], 0
                                        ; implicit-def: $sgpr7
	s_and_saveexec_b64 s[2:3], vcc
	s_xor_b64 s[2:3], exec, s[2:3]
	s_cbranch_execnz .LBB8_723
; %bb.211:
	s_or_saveexec_b64 s[2:3], s[2:3]
	v_mov_b32_e32 v138, s7
	s_xor_b64 exec, exec, s[2:3]
	s_cbranch_execnz .LBB8_726
.LBB8_212:
	s_or_b64 exec, exec, s[2:3]
	s_and_saveexec_b64 s[2:3], s[0:1]
	s_cbranch_execz .LBB8_214
.LBB8_213:
	v_mov_b32_e32 v138, 7
	v_and_b32_sdwa v139, v82, v138 dst_sel:DWORD dst_unused:UNUSED_PAD src0_sel:WORD_1 src1_sel:DWORD
	v_ffbh_u32_e32 v141, v139
	v_mov_b32_e32 v140, 3
	v_min_u32_e32 v141, 32, v141
	v_lshrrev_b16_sdwa v140, v140, v82 dst_sel:DWORD dst_unused:UNUSED_PAD src0_sel:DWORD src1_sel:WORD_1
	v_subrev_u32_e32 v142, 28, v141
	v_and_b32_e32 v140, 15, v140
	v_lshlrev_b32_e32 v142, v142, v139
	v_sub_u32_e32 v141, 29, v141
	v_and_b32_e32 v142, 7, v142
	v_cmp_eq_u16_e32 vcc, 0, v140
	v_lshrrev_b16_sdwa v138, v138, v82 dst_sel:DWORD dst_unused:UNUSED_PAD src0_sel:DWORD src1_sel:WORD_1
	v_cndmask_b32_e32 v139, v139, v142, vcc
	v_cndmask_b32_e32 v140, v140, v141, vcc
	v_mov_b32_e32 v141, 0x3b800000
	v_lshlrev_b32_e32 v139, 20, v139
	v_lshlrev_b32_e32 v138, 31, v138
	v_lshl_add_u32 v140, v140, 23, v141
	v_or3_b32 v138, v138, v140, v139
.LBB8_214:
	s_or_b64 exec, exec, s[2:3]
	v_mov_b32_e32 v139, 8
	v_lshrrev_b16_sdwa v140, v139, v82 dst_sel:DWORD dst_unused:UNUSED_PAD src0_sel:DWORD src1_sel:WORD_1
	s_movk_i32 s0, 0x7f
	v_cmp_lt_i16_e32 vcc, s0, v140
	s_mov_b64 s[0:1], 0
                                        ; implicit-def: $sgpr7
	s_and_saveexec_b64 s[2:3], vcc
	s_xor_b64 s[2:3], exec, s[2:3]
	s_cbranch_execnz .LBB8_727
; %bb.215:
	s_or_saveexec_b64 s[2:3], s[2:3]
	v_mov_b32_e32 v139, s7
	s_xor_b64 exec, exec, s[2:3]
	s_cbranch_execnz .LBB8_730
.LBB8_216:
	s_or_b64 exec, exec, s[2:3]
	s_and_saveexec_b64 s[2:3], s[0:1]
	s_cbranch_execz .LBB8_218
.LBB8_217:
	v_mov_b32_e32 v139, 8
	v_lshrrev_b16_sdwa v139, v139, v82 dst_sel:DWORD dst_unused:UNUSED_PAD src0_sel:DWORD src1_sel:WORD_1
	v_and_b32_e32 v139, 7, v139
	v_mov_b32_e32 v140, 15
	v_mov_b32_e32 v141, 11
	v_lshrrev_b16_sdwa v140, v140, v82 dst_sel:DWORD dst_unused:UNUSED_PAD src0_sel:DWORD src1_sel:WORD_1
	v_lshrrev_b16_sdwa v82, v141, v82 dst_sel:DWORD dst_unused:UNUSED_PAD src0_sel:DWORD src1_sel:WORD_1
	v_ffbh_u32_e32 v141, v139
	v_min_u32_e32 v141, 32, v141
	v_subrev_u32_e32 v142, 28, v141
	v_and_b32_e32 v82, 15, v82
	v_lshlrev_b32_e32 v142, v142, v139
	v_sub_u32_e32 v141, 29, v141
	v_and_b32_e32 v142, 7, v142
	v_cmp_eq_u16_e32 vcc, 0, v82
	v_cndmask_b32_e32 v139, v139, v142, vcc
	v_cndmask_b32_e32 v82, v82, v141, vcc
	v_mov_b32_e32 v141, 0x3b800000
	v_lshlrev_b32_e32 v139, 20, v139
	v_lshlrev_b32_e32 v140, 31, v140
	v_lshl_add_u32 v82, v82, 23, v141
	v_or3_b32 v139, v140, v82, v139
.LBB8_218:
	s_or_b64 exec, exec, s[2:3]
	s_movk_i32 s0, 0x7f
	v_cmp_gt_i16_sdwa s[2:3], v83, s0 src0_sel:BYTE_0 src1_sel:DWORD
	s_mov_b64 s[0:1], 0
                                        ; implicit-def: $sgpr7
	s_and_saveexec_b64 s[4:5], s[2:3]
	s_xor_b64 s[2:3], exec, s[4:5]
	s_cbranch_execnz .LBB8_731
; %bb.219:
	s_or_saveexec_b64 s[2:3], s[2:3]
	v_mov_b32_e32 v140, s7
	s_xor_b64 exec, exec, s[2:3]
	s_cbranch_execnz .LBB8_734
.LBB8_220:
	s_or_b64 exec, exec, s[2:3]
	s_and_saveexec_b64 s[2:3], s[0:1]
	s_cbranch_execz .LBB8_222
.LBB8_221:
	v_and_b32_e32 v82, 7, v83
	v_ffbh_u32_e32 v142, v82
	v_min_u32_e32 v142, 32, v142
	v_lshrrev_b16_e32 v141, 3, v83
	v_subrev_u32_e32 v143, 28, v142
	v_and_b32_e32 v141, 15, v141
	v_lshlrev_b32_e32 v143, v143, v82
	v_sub_u32_e32 v142, 29, v142
	v_and_b32_e32 v143, 7, v143
	v_cmp_eq_u16_e32 vcc, 0, v141
	v_lshrrev_b16_e32 v140, 7, v83
	v_cndmask_b32_e32 v82, v82, v143, vcc
	v_cndmask_b32_e32 v141, v141, v142, vcc
	v_mov_b32_e32 v142, 0x3b800000
	v_lshlrev_b32_e32 v82, 20, v82
	v_lshlrev_b32_e32 v140, 31, v140
	v_lshl_add_u32 v141, v141, 23, v142
	v_or3_b32 v140, v140, v141, v82
.LBB8_222:
	s_or_b64 exec, exec, s[2:3]
	s_movk_i32 s0, 0x7f
	v_cmp_gt_i16_sdwa s[2:3], v83, s0 src0_sel:BYTE_1 src1_sel:DWORD
	s_mov_b64 s[0:1], 0
                                        ; implicit-def: $sgpr7
	s_and_saveexec_b64 s[4:5], s[2:3]
	s_xor_b64 s[2:3], exec, s[4:5]
	s_cbranch_execnz .LBB8_735
; %bb.223:
	s_or_saveexec_b64 s[2:3], s[2:3]
	v_mov_b32_e32 v141, s7
	s_xor_b64 exec, exec, s[2:3]
	s_cbranch_execnz .LBB8_738
.LBB8_224:
	s_or_b64 exec, exec, s[2:3]
	s_and_saveexec_b64 s[2:3], s[0:1]
	s_cbranch_execz .LBB8_226
.LBB8_225:
	v_mov_b32_e32 v82, 7
	v_and_b32_sdwa v82, v83, v82 dst_sel:DWORD dst_unused:UNUSED_PAD src0_sel:BYTE_1 src1_sel:DWORD
	v_ffbh_u32_e32 v143, v82
	v_min_u32_e32 v143, 32, v143
	v_lshrrev_b16_e32 v142, 11, v83
	v_subrev_u32_e32 v144, 28, v143
	v_and_b32_e32 v142, 15, v142
	v_lshlrev_b32_e32 v144, v144, v82
	v_sub_u32_e32 v143, 29, v143
	v_and_b32_e32 v144, 7, v144
	v_cmp_eq_u16_e32 vcc, 0, v142
	v_lshrrev_b16_e32 v141, 15, v83
	v_cndmask_b32_e32 v82, v82, v144, vcc
	v_cndmask_b32_e32 v142, v142, v143, vcc
	v_mov_b32_e32 v143, 0x3b800000
	v_lshlrev_b32_e32 v82, 20, v82
	v_lshlrev_b32_e32 v141, 31, v141
	v_lshl_add_u32 v142, v142, 23, v143
	v_or3_b32 v141, v141, v142, v82
.LBB8_226:
	s_or_b64 exec, exec, s[2:3]
	s_movk_i32 s0, 0xff
	v_and_b32_sdwa v82, v83, s0 dst_sel:DWORD dst_unused:UNUSED_PAD src0_sel:WORD_1 src1_sel:DWORD
	s_movk_i32 s0, 0x7f
	v_cmp_lt_i16_e32 vcc, s0, v82
	s_mov_b64 s[0:1], 0
                                        ; implicit-def: $sgpr7
	s_and_saveexec_b64 s[2:3], vcc
	s_xor_b64 s[2:3], exec, s[2:3]
	s_cbranch_execnz .LBB8_739
; %bb.227:
	s_or_saveexec_b64 s[2:3], s[2:3]
	v_mov_b32_e32 v142, s7
	s_xor_b64 exec, exec, s[2:3]
	s_cbranch_execnz .LBB8_742
.LBB8_228:
	s_or_b64 exec, exec, s[2:3]
	s_and_saveexec_b64 s[2:3], s[0:1]
	s_cbranch_execz .LBB8_230
.LBB8_229:
	v_mov_b32_e32 v82, 7
	v_and_b32_sdwa v142, v83, v82 dst_sel:DWORD dst_unused:UNUSED_PAD src0_sel:WORD_1 src1_sel:DWORD
	v_ffbh_u32_e32 v144, v142
	v_mov_b32_e32 v143, 3
	v_min_u32_e32 v144, 32, v144
	v_lshrrev_b16_sdwa v143, v143, v83 dst_sel:DWORD dst_unused:UNUSED_PAD src0_sel:DWORD src1_sel:WORD_1
	v_subrev_u32_e32 v145, 28, v144
	v_and_b32_e32 v143, 15, v143
	v_lshlrev_b32_e32 v145, v145, v142
	v_sub_u32_e32 v144, 29, v144
	v_and_b32_e32 v145, 7, v145
	v_cmp_eq_u16_e32 vcc, 0, v143
	v_lshrrev_b16_sdwa v82, v82, v83 dst_sel:DWORD dst_unused:UNUSED_PAD src0_sel:DWORD src1_sel:WORD_1
	v_cndmask_b32_e32 v142, v142, v145, vcc
	v_cndmask_b32_e32 v143, v143, v144, vcc
	v_mov_b32_e32 v144, 0x3b800000
	v_lshlrev_b32_e32 v142, 20, v142
	v_lshlrev_b32_e32 v82, 31, v82
	v_lshl_add_u32 v143, v143, 23, v144
	v_or3_b32 v142, v82, v143, v142
.LBB8_230:
	s_or_b64 exec, exec, s[2:3]
	v_mov_b32_e32 v82, 8
	v_lshrrev_b16_sdwa v82, v82, v83 dst_sel:DWORD dst_unused:UNUSED_PAD src0_sel:DWORD src1_sel:WORD_1
	s_movk_i32 s0, 0x7f
	v_cmp_lt_i16_e32 vcc, s0, v82
	s_mov_b64 s[0:1], 0
                                        ; implicit-def: $sgpr7
	s_and_saveexec_b64 s[2:3], vcc
	s_xor_b64 s[2:3], exec, s[2:3]
	s_cbranch_execnz .LBB8_743
; %bb.231:
	s_or_saveexec_b64 s[2:3], s[2:3]
	v_mov_b32_e32 v143, s7
	s_xor_b64 exec, exec, s[2:3]
	s_cbranch_execnz .LBB8_746
.LBB8_232:
	s_or_b64 exec, exec, s[2:3]
	s_and_saveexec_b64 s[2:3], s[0:1]
	s_cbranch_execz .LBB8_234
.LBB8_233:
	v_mov_b32_e32 v82, 8
	v_lshrrev_b16_sdwa v82, v82, v83 dst_sel:DWORD dst_unused:UNUSED_PAD src0_sel:DWORD src1_sel:WORD_1
	v_and_b32_e32 v82, 7, v82
	v_mov_b32_e32 v143, 15
	v_mov_b32_e32 v144, 11
	v_lshrrev_b16_sdwa v143, v143, v83 dst_sel:DWORD dst_unused:UNUSED_PAD src0_sel:DWORD src1_sel:WORD_1
	v_lshrrev_b16_sdwa v83, v144, v83 dst_sel:DWORD dst_unused:UNUSED_PAD src0_sel:DWORD src1_sel:WORD_1
	v_ffbh_u32_e32 v144, v82
	v_min_u32_e32 v144, 32, v144
	v_subrev_u32_e32 v145, 28, v144
	v_and_b32_e32 v83, 15, v83
	v_lshlrev_b32_e32 v145, v145, v82
	v_sub_u32_e32 v144, 29, v144
	v_and_b32_e32 v145, 7, v145
	v_cmp_eq_u16_e32 vcc, 0, v83
	v_cndmask_b32_e32 v82, v82, v145, vcc
	v_cndmask_b32_e32 v83, v83, v144, vcc
	v_mov_b32_e32 v144, 0x3b800000
	v_lshlrev_b32_e32 v82, 20, v82
	v_lshlrev_b32_e32 v143, 31, v143
	v_lshl_add_u32 v83, v83, 23, v144
	v_or3_b32 v143, v143, v83, v82
.LBB8_234:
	s_or_b64 exec, exec, s[2:3]
	s_movk_i32 s0, 0x7f
	v_cmp_gt_i16_sdwa s[2:3], v84, s0 src0_sel:BYTE_0 src1_sel:DWORD
	s_mov_b64 s[0:1], 0
                                        ; implicit-def: $sgpr7
	s_and_saveexec_b64 s[4:5], s[2:3]
	s_xor_b64 s[2:3], exec, s[4:5]
	s_cbranch_execnz .LBB8_747
; %bb.235:
	s_or_saveexec_b64 s[2:3], s[2:3]
	v_mov_b32_e32 v144, s7
	s_xor_b64 exec, exec, s[2:3]
	s_cbranch_execnz .LBB8_750
.LBB8_236:
	s_or_b64 exec, exec, s[2:3]
	s_and_saveexec_b64 s[2:3], s[0:1]
	s_cbranch_execz .LBB8_238
.LBB8_237:
	v_and_b32_e32 v82, 7, v84
	v_ffbh_u32_e32 v145, v82
	v_min_u32_e32 v145, 32, v145
	v_lshrrev_b16_e32 v144, 3, v84
	v_subrev_u32_e32 v146, 28, v145
	v_and_b32_e32 v144, 15, v144
	v_lshlrev_b32_e32 v146, v146, v82
	v_sub_u32_e32 v145, 29, v145
	v_and_b32_e32 v146, 7, v146
	v_cmp_eq_u16_e32 vcc, 0, v144
	v_lshrrev_b16_e32 v83, 7, v84
	v_cndmask_b32_e32 v82, v82, v146, vcc
	v_cndmask_b32_e32 v144, v144, v145, vcc
	v_mov_b32_e32 v145, 0x3b800000
	v_lshlrev_b32_e32 v82, 20, v82
	v_lshlrev_b32_e32 v83, 31, v83
	v_lshl_add_u32 v144, v144, 23, v145
	v_or3_b32 v144, v83, v144, v82
.LBB8_238:
	s_or_b64 exec, exec, s[2:3]
	s_movk_i32 s0, 0x7f
	v_cmp_gt_i16_sdwa s[2:3], v84, s0 src0_sel:BYTE_1 src1_sel:DWORD
	s_mov_b64 s[0:1], 0
                                        ; implicit-def: $sgpr7
	s_and_saveexec_b64 s[4:5], s[2:3]
	s_xor_b64 s[2:3], exec, s[4:5]
	s_cbranch_execnz .LBB8_751
; %bb.239:
	s_or_saveexec_b64 s[2:3], s[2:3]
	v_mov_b32_e32 v145, s7
	s_xor_b64 exec, exec, s[2:3]
	s_cbranch_execnz .LBB8_754
.LBB8_240:
	s_or_b64 exec, exec, s[2:3]
	s_and_saveexec_b64 s[2:3], s[0:1]
	s_cbranch_execz .LBB8_242
.LBB8_241:
	v_mov_b32_e32 v82, 7
	v_and_b32_sdwa v82, v84, v82 dst_sel:DWORD dst_unused:UNUSED_PAD src0_sel:BYTE_1 src1_sel:DWORD
	v_ffbh_u32_e32 v146, v82
	v_min_u32_e32 v146, 32, v146
	v_lshrrev_b16_e32 v145, 11, v84
	v_subrev_u32_e32 v147, 28, v146
	v_and_b32_e32 v145, 15, v145
	v_lshlrev_b32_e32 v147, v147, v82
	v_sub_u32_e32 v146, 29, v146
	v_and_b32_e32 v147, 7, v147
	v_cmp_eq_u16_e32 vcc, 0, v145
	v_lshrrev_b16_e32 v83, 15, v84
	v_cndmask_b32_e32 v82, v82, v147, vcc
	v_cndmask_b32_e32 v145, v145, v146, vcc
	v_mov_b32_e32 v146, 0x3b800000
	v_lshlrev_b32_e32 v82, 20, v82
	v_lshlrev_b32_e32 v83, 31, v83
	v_lshl_add_u32 v145, v145, 23, v146
	v_or3_b32 v145, v83, v145, v82
.LBB8_242:
	s_or_b64 exec, exec, s[2:3]
	s_movk_i32 s0, 0xff
	v_and_b32_sdwa v82, v84, s0 dst_sel:DWORD dst_unused:UNUSED_PAD src0_sel:WORD_1 src1_sel:DWORD
	s_movk_i32 s0, 0x7f
	v_cmp_lt_i16_e32 vcc, s0, v82
	s_mov_b64 s[0:1], 0
                                        ; implicit-def: $sgpr7
	s_and_saveexec_b64 s[2:3], vcc
	s_xor_b64 s[2:3], exec, s[2:3]
	s_cbranch_execnz .LBB8_755
; %bb.243:
	s_or_saveexec_b64 s[2:3], s[2:3]
	v_mov_b32_e32 v146, s7
	s_xor_b64 exec, exec, s[2:3]
	s_cbranch_execnz .LBB8_758
.LBB8_244:
	s_or_b64 exec, exec, s[2:3]
	s_and_saveexec_b64 s[2:3], s[0:1]
	s_cbranch_execz .LBB8_246
.LBB8_245:
	v_mov_b32_e32 v82, 7
	v_and_b32_sdwa v83, v84, v82 dst_sel:DWORD dst_unused:UNUSED_PAD src0_sel:WORD_1 src1_sel:DWORD
	v_ffbh_u32_e32 v147, v83
	v_mov_b32_e32 v146, 3
	v_min_u32_e32 v147, 32, v147
	v_lshrrev_b16_sdwa v146, v146, v84 dst_sel:DWORD dst_unused:UNUSED_PAD src0_sel:DWORD src1_sel:WORD_1
	v_subrev_u32_e32 v148, 28, v147
	v_and_b32_e32 v146, 15, v146
	v_lshlrev_b32_e32 v148, v148, v83
	v_sub_u32_e32 v147, 29, v147
	v_and_b32_e32 v148, 7, v148
	v_cmp_eq_u16_e32 vcc, 0, v146
	v_lshrrev_b16_sdwa v82, v82, v84 dst_sel:DWORD dst_unused:UNUSED_PAD src0_sel:DWORD src1_sel:WORD_1
	v_cndmask_b32_e32 v83, v83, v148, vcc
	v_cndmask_b32_e32 v146, v146, v147, vcc
	v_mov_b32_e32 v147, 0x3b800000
	v_lshlrev_b32_e32 v83, 20, v83
	v_lshlrev_b32_e32 v82, 31, v82
	v_lshl_add_u32 v146, v146, 23, v147
	v_or3_b32 v146, v82, v146, v83
.LBB8_246:
	s_or_b64 exec, exec, s[2:3]
	v_mov_b32_e32 v82, 8
	v_lshrrev_b16_sdwa v82, v82, v84 dst_sel:DWORD dst_unused:UNUSED_PAD src0_sel:DWORD src1_sel:WORD_1
	s_movk_i32 s0, 0x7f
	v_cmp_lt_i16_e32 vcc, s0, v82
	s_mov_b64 s[0:1], 0
                                        ; implicit-def: $sgpr7
	s_and_saveexec_b64 s[2:3], vcc
	s_xor_b64 s[2:3], exec, s[2:3]
	s_cbranch_execnz .LBB8_759
; %bb.247:
	s_or_saveexec_b64 s[2:3], s[2:3]
	v_mov_b32_e32 v147, s7
	s_xor_b64 exec, exec, s[2:3]
	s_cbranch_execnz .LBB8_762
.LBB8_248:
	s_or_b64 exec, exec, s[2:3]
	s_and_saveexec_b64 s[2:3], s[0:1]
	s_cbranch_execz .LBB8_250
.LBB8_249:
	v_mov_b32_e32 v82, 8
	v_lshrrev_b16_sdwa v82, v82, v84 dst_sel:DWORD dst_unused:UNUSED_PAD src0_sel:DWORD src1_sel:WORD_1
	v_and_b32_e32 v82, 7, v82
	v_mov_b32_e32 v83, 15
	v_mov_b32_e32 v147, 11
	v_lshrrev_b16_sdwa v83, v83, v84 dst_sel:DWORD dst_unused:UNUSED_PAD src0_sel:DWORD src1_sel:WORD_1
	v_lshrrev_b16_sdwa v84, v147, v84 dst_sel:DWORD dst_unused:UNUSED_PAD src0_sel:DWORD src1_sel:WORD_1
	v_ffbh_u32_e32 v147, v82
	v_min_u32_e32 v147, 32, v147
	v_subrev_u32_e32 v148, 28, v147
	v_and_b32_e32 v84, 15, v84
	v_lshlrev_b32_e32 v148, v148, v82
	v_sub_u32_e32 v147, 29, v147
	v_and_b32_e32 v148, 7, v148
	v_cmp_eq_u16_e32 vcc, 0, v84
	v_cndmask_b32_e32 v82, v82, v148, vcc
	v_cndmask_b32_e32 v84, v84, v147, vcc
	v_mov_b32_e32 v147, 0x3b800000
	v_lshlrev_b32_e32 v82, 20, v82
	v_lshlrev_b32_e32 v83, 31, v83
	v_lshl_add_u32 v84, v84, 23, v147
	v_or3_b32 v147, v83, v84, v82
.LBB8_250:
	s_or_b64 exec, exec, s[2:3]
	s_movk_i32 s0, 0x7f
	v_cmp_gt_i16_sdwa s[2:3], v85, s0 src0_sel:BYTE_0 src1_sel:DWORD
	s_mov_b64 s[0:1], 0
                                        ; implicit-def: $sgpr7
	s_and_saveexec_b64 s[4:5], s[2:3]
	s_xor_b64 s[2:3], exec, s[4:5]
	s_cbranch_execnz .LBB8_763
; %bb.251:
	s_or_saveexec_b64 s[2:3], s[2:3]
	v_mov_b32_e32 v148, s7
	s_xor_b64 exec, exec, s[2:3]
	s_cbranch_execnz .LBB8_766
.LBB8_252:
	s_or_b64 exec, exec, s[2:3]
	s_and_saveexec_b64 s[2:3], s[0:1]
	s_cbranch_execz .LBB8_254
.LBB8_253:
	v_and_b32_e32 v82, 7, v85
	v_ffbh_u32_e32 v148, v82
	v_min_u32_e32 v148, 32, v148
	v_lshrrev_b16_e32 v84, 3, v85
	v_subrev_u32_e32 v149, 28, v148
	v_and_b32_e32 v84, 15, v84
	v_lshlrev_b32_e32 v149, v149, v82
	v_sub_u32_e32 v148, 29, v148
	v_and_b32_e32 v149, 7, v149
	v_cmp_eq_u16_e32 vcc, 0, v84
	v_lshrrev_b16_e32 v83, 7, v85
	v_cndmask_b32_e32 v82, v82, v149, vcc
	v_cndmask_b32_e32 v84, v84, v148, vcc
	v_mov_b32_e32 v148, 0x3b800000
	v_lshlrev_b32_e32 v82, 20, v82
	v_lshlrev_b32_e32 v83, 31, v83
	v_lshl_add_u32 v84, v84, 23, v148
	v_or3_b32 v148, v83, v84, v82
.LBB8_254:
	s_or_b64 exec, exec, s[2:3]
	s_movk_i32 s0, 0x7f
	v_cmp_gt_i16_sdwa s[2:3], v85, s0 src0_sel:BYTE_1 src1_sel:DWORD
	s_mov_b64 s[0:1], 0
                                        ; implicit-def: $sgpr7
	s_and_saveexec_b64 s[4:5], s[2:3]
	s_xor_b64 s[2:3], exec, s[4:5]
	s_cbranch_execnz .LBB8_767
; %bb.255:
	s_or_saveexec_b64 s[2:3], s[2:3]
	v_mov_b32_e32 v149, s7
	s_xor_b64 exec, exec, s[2:3]
	s_cbranch_execnz .LBB8_770
.LBB8_256:
	s_or_b64 exec, exec, s[2:3]
	s_and_saveexec_b64 s[2:3], s[0:1]
	s_cbranch_execz .LBB8_258
.LBB8_257:
	v_mov_b32_e32 v82, 7
	v_and_b32_sdwa v82, v85, v82 dst_sel:DWORD dst_unused:UNUSED_PAD src0_sel:BYTE_1 src1_sel:DWORD
	v_ffbh_u32_e32 v149, v82
	v_min_u32_e32 v149, 32, v149
	v_lshrrev_b16_e32 v84, 11, v85
	v_subrev_u32_e32 v150, 28, v149
	v_and_b32_e32 v84, 15, v84
	v_lshlrev_b32_e32 v150, v150, v82
	v_sub_u32_e32 v149, 29, v149
	v_and_b32_e32 v150, 7, v150
	v_cmp_eq_u16_e32 vcc, 0, v84
	v_lshrrev_b16_e32 v83, 15, v85
	v_cndmask_b32_e32 v82, v82, v150, vcc
	v_cndmask_b32_e32 v84, v84, v149, vcc
	v_mov_b32_e32 v149, 0x3b800000
	v_lshlrev_b32_e32 v82, 20, v82
	v_lshlrev_b32_e32 v83, 31, v83
	v_lshl_add_u32 v84, v84, 23, v149
	v_or3_b32 v149, v83, v84, v82
.LBB8_258:
	s_or_b64 exec, exec, s[2:3]
	s_movk_i32 s0, 0xff
	v_and_b32_sdwa v82, v85, s0 dst_sel:DWORD dst_unused:UNUSED_PAD src0_sel:WORD_1 src1_sel:DWORD
	s_movk_i32 s0, 0x7f
	v_cmp_lt_i16_e32 vcc, s0, v82
	s_mov_b64 s[0:1], 0
                                        ; implicit-def: $sgpr7
	s_and_saveexec_b64 s[2:3], vcc
	s_xor_b64 s[2:3], exec, s[2:3]
	s_cbranch_execnz .LBB8_771
; %bb.259:
	s_or_saveexec_b64 s[2:3], s[2:3]
	v_mov_b32_e32 v150, s7
	s_xor_b64 exec, exec, s[2:3]
	s_cbranch_execnz .LBB8_774
.LBB8_260:
	s_or_b64 exec, exec, s[2:3]
	s_and_saveexec_b64 s[2:3], s[0:1]
	s_cbranch_execz .LBB8_262
.LBB8_261:
	v_mov_b32_e32 v82, 7
	v_and_b32_sdwa v83, v85, v82 dst_sel:DWORD dst_unused:UNUSED_PAD src0_sel:WORD_1 src1_sel:DWORD
	v_ffbh_u32_e32 v150, v83
	v_mov_b32_e32 v84, 3
	v_min_u32_e32 v150, 32, v150
	v_lshrrev_b16_sdwa v84, v84, v85 dst_sel:DWORD dst_unused:UNUSED_PAD src0_sel:DWORD src1_sel:WORD_1
	v_subrev_u32_e32 v151, 28, v150
	v_and_b32_e32 v84, 15, v84
	v_lshlrev_b32_e32 v151, v151, v83
	v_sub_u32_e32 v150, 29, v150
	v_and_b32_e32 v151, 7, v151
	v_cmp_eq_u16_e32 vcc, 0, v84
	v_lshrrev_b16_sdwa v82, v82, v85 dst_sel:DWORD dst_unused:UNUSED_PAD src0_sel:DWORD src1_sel:WORD_1
	v_cndmask_b32_e32 v83, v83, v151, vcc
	v_cndmask_b32_e32 v84, v84, v150, vcc
	v_mov_b32_e32 v150, 0x3b800000
	v_lshlrev_b32_e32 v83, 20, v83
	v_lshlrev_b32_e32 v82, 31, v82
	v_lshl_add_u32 v84, v84, 23, v150
	v_or3_b32 v150, v82, v84, v83
.LBB8_262:
	s_or_b64 exec, exec, s[2:3]
	v_mov_b32_e32 v82, 8
	v_lshrrev_b16_sdwa v82, v82, v85 dst_sel:DWORD dst_unused:UNUSED_PAD src0_sel:DWORD src1_sel:WORD_1
	s_movk_i32 s0, 0x7f
	v_cmp_lt_i16_e32 vcc, s0, v82
	s_mov_b64 s[0:1], 0
                                        ; implicit-def: $sgpr7
	s_and_saveexec_b64 s[2:3], vcc
	s_xor_b64 s[2:3], exec, s[2:3]
	s_cbranch_execnz .LBB8_775
; %bb.263:
	s_or_saveexec_b64 s[2:3], s[2:3]
	v_mov_b32_e32 v151, s7
	s_xor_b64 exec, exec, s[2:3]
	s_cbranch_execnz .LBB8_778
.LBB8_264:
	s_or_b64 exec, exec, s[2:3]
	s_and_saveexec_b64 s[2:3], s[0:1]
	s_cbranch_execz .LBB8_266
.LBB8_265:
	v_mov_b32_e32 v82, 8
	v_lshrrev_b16_sdwa v82, v82, v85 dst_sel:DWORD dst_unused:UNUSED_PAD src0_sel:DWORD src1_sel:WORD_1
	v_and_b32_e32 v82, 7, v82
	v_mov_b32_e32 v83, 15
	v_mov_b32_e32 v84, 11
	v_lshrrev_b16_sdwa v83, v83, v85 dst_sel:DWORD dst_unused:UNUSED_PAD src0_sel:DWORD src1_sel:WORD_1
	v_lshrrev_b16_sdwa v84, v84, v85 dst_sel:DWORD dst_unused:UNUSED_PAD src0_sel:DWORD src1_sel:WORD_1
	v_ffbh_u32_e32 v85, v82
	v_min_u32_e32 v85, 32, v85
	v_subrev_u32_e32 v151, 28, v85
	v_and_b32_e32 v84, 15, v84
	v_lshlrev_b32_e32 v151, v151, v82
	v_sub_u32_e32 v85, 29, v85
	v_and_b32_e32 v151, 7, v151
	v_cmp_eq_u16_e32 vcc, 0, v84
	v_cndmask_b32_e32 v82, v82, v151, vcc
	v_cndmask_b32_e32 v84, v84, v85, vcc
	v_mov_b32_e32 v85, 0x3b800000
	v_lshlrev_b32_e32 v82, 20, v82
	v_lshlrev_b32_e32 v83, 31, v83
	v_lshl_add_u32 v84, v84, 23, v85
	v_or3_b32 v151, v83, v84, v82
.LBB8_266:
	s_or_b64 exec, exec, s[2:3]
	s_movk_i32 s0, 0x7f
	v_cmp_gt_i16_sdwa s[2:3], v78, s0 src0_sel:BYTE_0 src1_sel:DWORD
	s_mov_b64 s[0:1], 0
                                        ; implicit-def: $sgpr7
	s_and_saveexec_b64 s[4:5], s[2:3]
	s_xor_b64 s[2:3], exec, s[4:5]
	s_cbranch_execnz .LBB8_779
; %bb.267:
	s_or_saveexec_b64 s[2:3], s[2:3]
	v_mov_b32_e32 v152, s7
	s_xor_b64 exec, exec, s[2:3]
	s_cbranch_execnz .LBB8_782
.LBB8_268:
	s_or_b64 exec, exec, s[2:3]
	s_and_saveexec_b64 s[2:3], s[0:1]
	s_cbranch_execz .LBB8_270
.LBB8_269:
	v_and_b32_e32 v82, 7, v78
	v_ffbh_u32_e32 v85, v82
	v_min_u32_e32 v85, 32, v85
	v_lshrrev_b16_e32 v84, 3, v78
	v_subrev_u32_e32 v152, 28, v85
	v_and_b32_e32 v84, 15, v84
	v_lshlrev_b32_e32 v152, v152, v82
	v_sub_u32_e32 v85, 29, v85
	v_and_b32_e32 v152, 7, v152
	v_cmp_eq_u16_e32 vcc, 0, v84
	v_lshrrev_b16_e32 v83, 7, v78
	v_cndmask_b32_e32 v82, v82, v152, vcc
	v_cndmask_b32_e32 v84, v84, v85, vcc
	v_mov_b32_e32 v85, 0x3b800000
	v_lshlrev_b32_e32 v82, 20, v82
	v_lshlrev_b32_e32 v83, 31, v83
	v_lshl_add_u32 v84, v84, 23, v85
	v_or3_b32 v152, v83, v84, v82
.LBB8_270:
	s_or_b64 exec, exec, s[2:3]
	s_movk_i32 s0, 0x7f
	v_cmp_gt_i16_sdwa s[2:3], v78, s0 src0_sel:BYTE_1 src1_sel:DWORD
	s_mov_b64 s[0:1], 0
                                        ; implicit-def: $sgpr7
	s_and_saveexec_b64 s[4:5], s[2:3]
	s_xor_b64 s[2:3], exec, s[4:5]
	s_cbranch_execnz .LBB8_783
; %bb.271:
	s_or_saveexec_b64 s[2:3], s[2:3]
	v_mov_b32_e32 v153, s7
	s_xor_b64 exec, exec, s[2:3]
	s_cbranch_execnz .LBB8_786
.LBB8_272:
	s_or_b64 exec, exec, s[2:3]
	s_and_saveexec_b64 s[2:3], s[0:1]
	s_cbranch_execz .LBB8_274
.LBB8_273:
	v_mov_b32_e32 v82, 7
	v_and_b32_sdwa v82, v78, v82 dst_sel:DWORD dst_unused:UNUSED_PAD src0_sel:BYTE_1 src1_sel:DWORD
	v_ffbh_u32_e32 v85, v82
	v_min_u32_e32 v85, 32, v85
	v_lshrrev_b16_e32 v84, 11, v78
	v_subrev_u32_e32 v153, 28, v85
	v_and_b32_e32 v84, 15, v84
	v_lshlrev_b32_e32 v153, v153, v82
	v_sub_u32_e32 v85, 29, v85
	v_and_b32_e32 v153, 7, v153
	v_cmp_eq_u16_e32 vcc, 0, v84
	v_lshrrev_b16_e32 v83, 15, v78
	v_cndmask_b32_e32 v82, v82, v153, vcc
	v_cndmask_b32_e32 v84, v84, v85, vcc
	v_mov_b32_e32 v85, 0x3b800000
	v_lshlrev_b32_e32 v82, 20, v82
	v_lshlrev_b32_e32 v83, 31, v83
	v_lshl_add_u32 v84, v84, 23, v85
	v_or3_b32 v153, v83, v84, v82
.LBB8_274:
	s_or_b64 exec, exec, s[2:3]
	s_movk_i32 s0, 0xff
	v_and_b32_sdwa v82, v78, s0 dst_sel:DWORD dst_unused:UNUSED_PAD src0_sel:WORD_1 src1_sel:DWORD
	s_movk_i32 s0, 0x7f
	v_cmp_lt_i16_e32 vcc, s0, v82
	s_mov_b64 s[0:1], 0
                                        ; implicit-def: $sgpr7
	s_and_saveexec_b64 s[2:3], vcc
	s_xor_b64 s[2:3], exec, s[2:3]
	s_cbranch_execnz .LBB8_787
; %bb.275:
	s_or_saveexec_b64 s[2:3], s[2:3]
	v_mov_b32_e32 v154, s7
	s_xor_b64 exec, exec, s[2:3]
	s_cbranch_execnz .LBB8_790
.LBB8_276:
	s_or_b64 exec, exec, s[2:3]
	s_and_saveexec_b64 s[2:3], s[0:1]
	s_cbranch_execz .LBB8_278
.LBB8_277:
	v_mov_b32_e32 v82, 7
	v_and_b32_sdwa v83, v78, v82 dst_sel:DWORD dst_unused:UNUSED_PAD src0_sel:WORD_1 src1_sel:DWORD
	v_ffbh_u32_e32 v85, v83
	v_mov_b32_e32 v84, 3
	v_min_u32_e32 v85, 32, v85
	v_lshrrev_b16_sdwa v84, v84, v78 dst_sel:DWORD dst_unused:UNUSED_PAD src0_sel:DWORD src1_sel:WORD_1
	v_subrev_u32_e32 v154, 28, v85
	v_and_b32_e32 v84, 15, v84
	v_lshlrev_b32_e32 v154, v154, v83
	v_sub_u32_e32 v85, 29, v85
	v_and_b32_e32 v154, 7, v154
	v_cmp_eq_u16_e32 vcc, 0, v84
	v_lshrrev_b16_sdwa v82, v82, v78 dst_sel:DWORD dst_unused:UNUSED_PAD src0_sel:DWORD src1_sel:WORD_1
	v_cndmask_b32_e32 v83, v83, v154, vcc
	v_cndmask_b32_e32 v84, v84, v85, vcc
	v_mov_b32_e32 v85, 0x3b800000
	v_lshlrev_b32_e32 v83, 20, v83
	v_lshlrev_b32_e32 v82, 31, v82
	v_lshl_add_u32 v84, v84, 23, v85
	v_or3_b32 v154, v82, v84, v83
.LBB8_278:
	s_or_b64 exec, exec, s[2:3]
	v_mov_b32_e32 v82, 8
	v_lshrrev_b16_sdwa v82, v82, v78 dst_sel:DWORD dst_unused:UNUSED_PAD src0_sel:DWORD src1_sel:WORD_1
	s_movk_i32 s0, 0x7f
	v_cmp_lt_i16_e32 vcc, s0, v82
	s_mov_b64 s[0:1], 0
                                        ; implicit-def: $sgpr7
	s_and_saveexec_b64 s[2:3], vcc
	s_xor_b64 s[2:3], exec, s[2:3]
	s_cbranch_execnz .LBB8_791
; %bb.279:
	s_or_saveexec_b64 s[2:3], s[2:3]
	v_mov_b32_e32 v155, s7
	s_xor_b64 exec, exec, s[2:3]
	s_cbranch_execnz .LBB8_794
.LBB8_280:
	s_or_b64 exec, exec, s[2:3]
	s_and_saveexec_b64 s[2:3], s[0:1]
	s_cbranch_execz .LBB8_282
.LBB8_281:
	v_mov_b32_e32 v82, 8
	v_lshrrev_b16_sdwa v82, v82, v78 dst_sel:DWORD dst_unused:UNUSED_PAD src0_sel:DWORD src1_sel:WORD_1
	v_and_b32_e32 v82, 7, v82
	v_mov_b32_e32 v83, 15
	v_mov_b32_e32 v84, 11
	v_lshrrev_b16_sdwa v83, v83, v78 dst_sel:DWORD dst_unused:UNUSED_PAD src0_sel:DWORD src1_sel:WORD_1
	v_lshrrev_b16_sdwa v78, v84, v78 dst_sel:DWORD dst_unused:UNUSED_PAD src0_sel:DWORD src1_sel:WORD_1
	v_ffbh_u32_e32 v84, v82
	v_min_u32_e32 v84, 32, v84
	v_subrev_u32_e32 v85, 28, v84
	v_and_b32_e32 v78, 15, v78
	v_lshlrev_b32_e32 v85, v85, v82
	v_sub_u32_e32 v84, 29, v84
	v_and_b32_e32 v85, 7, v85
	v_cmp_eq_u16_e32 vcc, 0, v78
	v_cndmask_b32_e32 v82, v82, v85, vcc
	v_cndmask_b32_e32 v78, v78, v84, vcc
	v_mov_b32_e32 v84, 0x3b800000
	v_lshlrev_b32_e32 v82, 20, v82
	v_lshlrev_b32_e32 v83, 31, v83
	v_lshl_add_u32 v78, v78, 23, v84
	v_or3_b32 v155, v83, v78, v82
.LBB8_282:
	s_or_b64 exec, exec, s[2:3]
	s_movk_i32 s0, 0x7f
	v_cmp_gt_i16_sdwa s[2:3], v79, s0 src0_sel:BYTE_0 src1_sel:DWORD
	s_mov_b64 s[0:1], 0
                                        ; implicit-def: $sgpr7
	s_and_saveexec_b64 s[4:5], s[2:3]
	s_xor_b64 s[2:3], exec, s[4:5]
	s_cbranch_execnz .LBB8_795
; %bb.283:
	s_or_saveexec_b64 s[2:3], s[2:3]
	v_mov_b32_e32 v78, s7
	s_xor_b64 exec, exec, s[2:3]
	s_cbranch_execnz .LBB8_798
.LBB8_284:
	s_or_b64 exec, exec, s[2:3]
	s_and_saveexec_b64 s[2:3], s[0:1]
	s_cbranch_execz .LBB8_286
.LBB8_285:
	v_and_b32_e32 v78, 7, v79
	v_ffbh_u32_e32 v84, v78
	v_min_u32_e32 v84, 32, v84
	v_lshrrev_b16_e32 v83, 3, v79
	v_subrev_u32_e32 v85, 28, v84
	v_and_b32_e32 v83, 15, v83
	v_lshlrev_b32_e32 v85, v85, v78
	v_sub_u32_e32 v84, 29, v84
	v_and_b32_e32 v85, 7, v85
	v_cmp_eq_u16_e32 vcc, 0, v83
	v_lshrrev_b16_e32 v82, 7, v79
	v_cndmask_b32_e32 v78, v78, v85, vcc
	v_cndmask_b32_e32 v83, v83, v84, vcc
	v_mov_b32_e32 v84, 0x3b800000
	v_lshlrev_b32_e32 v78, 20, v78
	v_lshlrev_b32_e32 v82, 31, v82
	v_lshl_add_u32 v83, v83, 23, v84
	v_or3_b32 v78, v82, v83, v78
.LBB8_286:
	s_or_b64 exec, exec, s[2:3]
	s_movk_i32 s0, 0x7f
	v_cmp_gt_i16_sdwa s[2:3], v79, s0 src0_sel:BYTE_1 src1_sel:DWORD
	s_mov_b64 s[0:1], 0
                                        ; implicit-def: $sgpr7
	s_and_saveexec_b64 s[4:5], s[2:3]
	s_xor_b64 s[2:3], exec, s[4:5]
	s_cbranch_execnz .LBB8_799
; %bb.287:
	s_or_saveexec_b64 s[2:3], s[2:3]
	v_mov_b32_e32 v156, s7
	s_xor_b64 exec, exec, s[2:3]
	s_cbranch_execnz .LBB8_802
.LBB8_288:
	s_or_b64 exec, exec, s[2:3]
	s_and_saveexec_b64 s[2:3], s[0:1]
	s_cbranch_execz .LBB8_290
.LBB8_289:
	v_mov_b32_e32 v82, 7
	v_and_b32_sdwa v82, v79, v82 dst_sel:DWORD dst_unused:UNUSED_PAD src0_sel:BYTE_1 src1_sel:DWORD
	v_ffbh_u32_e32 v85, v82
	v_min_u32_e32 v85, 32, v85
	v_lshrrev_b16_e32 v84, 11, v79
	v_subrev_u32_e32 v156, 28, v85
	v_and_b32_e32 v84, 15, v84
	v_lshlrev_b32_e32 v156, v156, v82
	v_sub_u32_e32 v85, 29, v85
	v_and_b32_e32 v156, 7, v156
	v_cmp_eq_u16_e32 vcc, 0, v84
	v_lshrrev_b16_e32 v83, 15, v79
	v_cndmask_b32_e32 v82, v82, v156, vcc
	v_cndmask_b32_e32 v84, v84, v85, vcc
	v_mov_b32_e32 v85, 0x3b800000
	v_lshlrev_b32_e32 v82, 20, v82
	v_lshlrev_b32_e32 v83, 31, v83
	v_lshl_add_u32 v84, v84, 23, v85
	v_or3_b32 v156, v83, v84, v82
.LBB8_290:
	s_or_b64 exec, exec, s[2:3]
	s_movk_i32 s0, 0xff
	v_and_b32_sdwa v82, v79, s0 dst_sel:DWORD dst_unused:UNUSED_PAD src0_sel:WORD_1 src1_sel:DWORD
	s_movk_i32 s0, 0x7f
	v_cmp_lt_i16_e32 vcc, s0, v82
	s_mov_b64 s[0:1], 0
                                        ; implicit-def: $sgpr7
	s_and_saveexec_b64 s[2:3], vcc
	s_xor_b64 s[2:3], exec, s[2:3]
	s_cbranch_execnz .LBB8_803
; %bb.291:
	s_or_saveexec_b64 s[2:3], s[2:3]
	v_mov_b32_e32 v157, s7
	s_xor_b64 exec, exec, s[2:3]
	s_cbranch_execnz .LBB8_806
.LBB8_292:
	s_or_b64 exec, exec, s[2:3]
	s_and_saveexec_b64 s[2:3], s[0:1]
	s_cbranch_execz .LBB8_294
.LBB8_293:
	v_mov_b32_e32 v82, 7
	v_and_b32_sdwa v83, v79, v82 dst_sel:DWORD dst_unused:UNUSED_PAD src0_sel:WORD_1 src1_sel:DWORD
	v_ffbh_u32_e32 v85, v83
	v_mov_b32_e32 v84, 3
	v_min_u32_e32 v85, 32, v85
	v_lshrrev_b16_sdwa v84, v84, v79 dst_sel:DWORD dst_unused:UNUSED_PAD src0_sel:DWORD src1_sel:WORD_1
	v_subrev_u32_e32 v157, 28, v85
	v_and_b32_e32 v84, 15, v84
	v_lshlrev_b32_e32 v157, v157, v83
	v_sub_u32_e32 v85, 29, v85
	v_and_b32_e32 v157, 7, v157
	v_cmp_eq_u16_e32 vcc, 0, v84
	v_lshrrev_b16_sdwa v82, v82, v79 dst_sel:DWORD dst_unused:UNUSED_PAD src0_sel:DWORD src1_sel:WORD_1
	v_cndmask_b32_e32 v83, v83, v157, vcc
	v_cndmask_b32_e32 v84, v84, v85, vcc
	v_mov_b32_e32 v85, 0x3b800000
	v_lshlrev_b32_e32 v83, 20, v83
	v_lshlrev_b32_e32 v82, 31, v82
	v_lshl_add_u32 v84, v84, 23, v85
	v_or3_b32 v157, v82, v84, v83
.LBB8_294:
	s_or_b64 exec, exec, s[2:3]
	v_mov_b32_e32 v82, 8
	v_lshrrev_b16_sdwa v82, v82, v79 dst_sel:DWORD dst_unused:UNUSED_PAD src0_sel:DWORD src1_sel:WORD_1
	s_movk_i32 s0, 0x7f
	v_cmp_lt_i16_e32 vcc, s0, v82
	s_mov_b64 s[0:1], 0
                                        ; implicit-def: $sgpr7
	s_and_saveexec_b64 s[2:3], vcc
	s_xor_b64 s[2:3], exec, s[2:3]
	s_cbranch_execnz .LBB8_807
; %bb.295:
	s_or_saveexec_b64 s[2:3], s[2:3]
	v_mov_b32_e32 v158, s7
	s_xor_b64 exec, exec, s[2:3]
	s_cbranch_execnz .LBB8_810
.LBB8_296:
	s_or_b64 exec, exec, s[2:3]
	s_and_saveexec_b64 s[2:3], s[0:1]
	s_cbranch_execz .LBB8_298
.LBB8_297:
	v_mov_b32_e32 v82, 8
	v_lshrrev_b16_sdwa v82, v82, v79 dst_sel:DWORD dst_unused:UNUSED_PAD src0_sel:DWORD src1_sel:WORD_1
	v_and_b32_e32 v82, 7, v82
	v_mov_b32_e32 v83, 15
	v_mov_b32_e32 v84, 11
	v_lshrrev_b16_sdwa v83, v83, v79 dst_sel:DWORD dst_unused:UNUSED_PAD src0_sel:DWORD src1_sel:WORD_1
	v_lshrrev_b16_sdwa v79, v84, v79 dst_sel:DWORD dst_unused:UNUSED_PAD src0_sel:DWORD src1_sel:WORD_1
	v_ffbh_u32_e32 v84, v82
	v_min_u32_e32 v84, 32, v84
	v_subrev_u32_e32 v85, 28, v84
	v_and_b32_e32 v79, 15, v79
	v_lshlrev_b32_e32 v85, v85, v82
	v_sub_u32_e32 v84, 29, v84
	v_and_b32_e32 v85, 7, v85
	v_cmp_eq_u16_e32 vcc, 0, v79
	v_cndmask_b32_e32 v82, v82, v85, vcc
	v_cndmask_b32_e32 v79, v79, v84, vcc
	v_mov_b32_e32 v84, 0x3b800000
	v_lshlrev_b32_e32 v82, 20, v82
	v_lshlrev_b32_e32 v83, 31, v83
	v_lshl_add_u32 v79, v79, 23, v84
	v_or3_b32 v158, v83, v79, v82
.LBB8_298:
	s_or_b64 exec, exec, s[2:3]
	s_movk_i32 s0, 0x7f
	v_cmp_gt_i16_sdwa s[2:3], v80, s0 src0_sel:BYTE_0 src1_sel:DWORD
	s_mov_b64 s[0:1], 0
                                        ; implicit-def: $sgpr7
	s_and_saveexec_b64 s[4:5], s[2:3]
	s_xor_b64 s[2:3], exec, s[4:5]
	s_cbranch_execnz .LBB8_811
; %bb.299:
	s_or_saveexec_b64 s[2:3], s[2:3]
	v_mov_b32_e32 v79, s7
	s_xor_b64 exec, exec, s[2:3]
	s_cbranch_execnz .LBB8_814
.LBB8_300:
	s_or_b64 exec, exec, s[2:3]
	s_and_saveexec_b64 s[2:3], s[0:1]
	s_cbranch_execz .LBB8_302
.LBB8_301:
	v_and_b32_e32 v79, 7, v80
	v_ffbh_u32_e32 v84, v79
	v_min_u32_e32 v84, 32, v84
	v_lshrrev_b16_e32 v83, 3, v80
	v_subrev_u32_e32 v85, 28, v84
	v_and_b32_e32 v83, 15, v83
	v_lshlrev_b32_e32 v85, v85, v79
	v_sub_u32_e32 v84, 29, v84
	v_and_b32_e32 v85, 7, v85
	v_cmp_eq_u16_e32 vcc, 0, v83
	v_lshrrev_b16_e32 v82, 7, v80
	v_cndmask_b32_e32 v79, v79, v85, vcc
	v_cndmask_b32_e32 v83, v83, v84, vcc
	v_mov_b32_e32 v84, 0x3b800000
	v_lshlrev_b32_e32 v79, 20, v79
	v_lshlrev_b32_e32 v82, 31, v82
	v_lshl_add_u32 v83, v83, 23, v84
	v_or3_b32 v79, v82, v83, v79
.LBB8_302:
	s_or_b64 exec, exec, s[2:3]
	s_movk_i32 s0, 0x7f
	v_cmp_gt_i16_sdwa s[2:3], v80, s0 src0_sel:BYTE_1 src1_sel:DWORD
	s_mov_b64 s[0:1], 0
                                        ; implicit-def: $sgpr7
	s_and_saveexec_b64 s[4:5], s[2:3]
	s_xor_b64 s[2:3], exec, s[4:5]
	s_cbranch_execnz .LBB8_815
; %bb.303:
	s_or_saveexec_b64 s[2:3], s[2:3]
	v_mov_b32_e32 v159, s7
	s_xor_b64 exec, exec, s[2:3]
	s_cbranch_execnz .LBB8_818
.LBB8_304:
	s_or_b64 exec, exec, s[2:3]
	s_and_saveexec_b64 s[2:3], s[0:1]
	s_cbranch_execz .LBB8_306
.LBB8_305:
	v_mov_b32_e32 v82, 7
	v_and_b32_sdwa v82, v80, v82 dst_sel:DWORD dst_unused:UNUSED_PAD src0_sel:BYTE_1 src1_sel:DWORD
	v_ffbh_u32_e32 v85, v82
	v_min_u32_e32 v85, 32, v85
	v_lshrrev_b16_e32 v84, 11, v80
	v_subrev_u32_e32 v159, 28, v85
	v_and_b32_e32 v84, 15, v84
	v_lshlrev_b32_e32 v159, v159, v82
	v_sub_u32_e32 v85, 29, v85
	v_and_b32_e32 v159, 7, v159
	v_cmp_eq_u16_e32 vcc, 0, v84
	v_lshrrev_b16_e32 v83, 15, v80
	v_cndmask_b32_e32 v82, v82, v159, vcc
	v_cndmask_b32_e32 v84, v84, v85, vcc
	v_mov_b32_e32 v85, 0x3b800000
	v_lshlrev_b32_e32 v82, 20, v82
	v_lshlrev_b32_e32 v83, 31, v83
	v_lshl_add_u32 v84, v84, 23, v85
	v_or3_b32 v159, v83, v84, v82
.LBB8_306:
	s_or_b64 exec, exec, s[2:3]
	s_movk_i32 s0, 0xff
	v_and_b32_sdwa v82, v80, s0 dst_sel:DWORD dst_unused:UNUSED_PAD src0_sel:WORD_1 src1_sel:DWORD
	s_movk_i32 s0, 0x7f
	v_cmp_lt_i16_e32 vcc, s0, v82
	s_mov_b64 s[0:1], 0
                                        ; implicit-def: $sgpr7
	s_and_saveexec_b64 s[2:3], vcc
	s_xor_b64 s[2:3], exec, s[2:3]
	s_cbranch_execnz .LBB8_819
; %bb.307:
	s_or_saveexec_b64 s[2:3], s[2:3]
	v_mov_b32_e32 v160, s7
	s_xor_b64 exec, exec, s[2:3]
	s_cbranch_execnz .LBB8_822
.LBB8_308:
	s_or_b64 exec, exec, s[2:3]
	s_and_saveexec_b64 s[2:3], s[0:1]
	s_cbranch_execz .LBB8_310
.LBB8_309:
	v_mov_b32_e32 v82, 7
	v_and_b32_sdwa v83, v80, v82 dst_sel:DWORD dst_unused:UNUSED_PAD src0_sel:WORD_1 src1_sel:DWORD
	v_ffbh_u32_e32 v85, v83
	v_mov_b32_e32 v84, 3
	v_min_u32_e32 v85, 32, v85
	v_lshrrev_b16_sdwa v84, v84, v80 dst_sel:DWORD dst_unused:UNUSED_PAD src0_sel:DWORD src1_sel:WORD_1
	v_subrev_u32_e32 v160, 28, v85
	v_and_b32_e32 v84, 15, v84
	v_lshlrev_b32_e32 v160, v160, v83
	v_sub_u32_e32 v85, 29, v85
	v_and_b32_e32 v160, 7, v160
	v_cmp_eq_u16_e32 vcc, 0, v84
	v_lshrrev_b16_sdwa v82, v82, v80 dst_sel:DWORD dst_unused:UNUSED_PAD src0_sel:DWORD src1_sel:WORD_1
	v_cndmask_b32_e32 v83, v83, v160, vcc
	v_cndmask_b32_e32 v84, v84, v85, vcc
	v_mov_b32_e32 v85, 0x3b800000
	v_lshlrev_b32_e32 v83, 20, v83
	v_lshlrev_b32_e32 v82, 31, v82
	v_lshl_add_u32 v84, v84, 23, v85
	v_or3_b32 v160, v82, v84, v83
.LBB8_310:
	s_or_b64 exec, exec, s[2:3]
	v_mov_b32_e32 v82, 8
	v_lshrrev_b16_sdwa v82, v82, v80 dst_sel:DWORD dst_unused:UNUSED_PAD src0_sel:DWORD src1_sel:WORD_1
	s_movk_i32 s0, 0x7f
	v_cmp_lt_i16_e32 vcc, s0, v82
	s_mov_b64 s[0:1], 0
                                        ; implicit-def: $sgpr7
	s_and_saveexec_b64 s[2:3], vcc
	s_xor_b64 s[2:3], exec, s[2:3]
	s_cbranch_execnz .LBB8_823
; %bb.311:
	s_or_saveexec_b64 s[2:3], s[2:3]
	v_mov_b32_e32 v161, s7
	s_xor_b64 exec, exec, s[2:3]
	s_cbranch_execnz .LBB8_826
.LBB8_312:
	s_or_b64 exec, exec, s[2:3]
	s_and_saveexec_b64 s[2:3], s[0:1]
	s_cbranch_execz .LBB8_314
.LBB8_313:
	v_mov_b32_e32 v82, 8
	v_lshrrev_b16_sdwa v82, v82, v80 dst_sel:DWORD dst_unused:UNUSED_PAD src0_sel:DWORD src1_sel:WORD_1
	v_and_b32_e32 v82, 7, v82
	v_mov_b32_e32 v83, 15
	v_mov_b32_e32 v84, 11
	v_lshrrev_b16_sdwa v83, v83, v80 dst_sel:DWORD dst_unused:UNUSED_PAD src0_sel:DWORD src1_sel:WORD_1
	v_lshrrev_b16_sdwa v80, v84, v80 dst_sel:DWORD dst_unused:UNUSED_PAD src0_sel:DWORD src1_sel:WORD_1
	v_ffbh_u32_e32 v84, v82
	v_min_u32_e32 v84, 32, v84
	v_subrev_u32_e32 v85, 28, v84
	v_and_b32_e32 v80, 15, v80
	v_lshlrev_b32_e32 v85, v85, v82
	v_sub_u32_e32 v84, 29, v84
	v_and_b32_e32 v85, 7, v85
	v_cmp_eq_u16_e32 vcc, 0, v80
	v_cndmask_b32_e32 v82, v82, v85, vcc
	v_cndmask_b32_e32 v80, v80, v84, vcc
	v_mov_b32_e32 v84, 0x3b800000
	v_lshlrev_b32_e32 v82, 20, v82
	v_lshlrev_b32_e32 v83, 31, v83
	v_lshl_add_u32 v80, v80, 23, v84
	v_or3_b32 v161, v83, v80, v82
.LBB8_314:
	s_or_b64 exec, exec, s[2:3]
	s_movk_i32 s0, 0x7f
	v_cmp_gt_i16_sdwa s[2:3], v81, s0 src0_sel:BYTE_0 src1_sel:DWORD
	s_mov_b64 s[0:1], 0
                                        ; implicit-def: $sgpr7
	s_and_saveexec_b64 s[4:5], s[2:3]
	s_xor_b64 s[2:3], exec, s[4:5]
	s_cbranch_execnz .LBB8_827
; %bb.315:
	s_or_saveexec_b64 s[2:3], s[2:3]
	v_mov_b32_e32 v80, s7
	s_xor_b64 exec, exec, s[2:3]
	s_cbranch_execnz .LBB8_830
.LBB8_316:
	s_or_b64 exec, exec, s[2:3]
	s_and_saveexec_b64 s[2:3], s[0:1]
	s_cbranch_execz .LBB8_318
.LBB8_317:
	v_and_b32_e32 v80, 7, v81
	v_ffbh_u32_e32 v84, v80
	v_min_u32_e32 v84, 32, v84
	v_lshrrev_b16_e32 v83, 3, v81
	v_subrev_u32_e32 v85, 28, v84
	v_and_b32_e32 v83, 15, v83
	v_lshlrev_b32_e32 v85, v85, v80
	v_sub_u32_e32 v84, 29, v84
	v_and_b32_e32 v85, 7, v85
	v_cmp_eq_u16_e32 vcc, 0, v83
	v_lshrrev_b16_e32 v82, 7, v81
	v_cndmask_b32_e32 v80, v80, v85, vcc
	v_cndmask_b32_e32 v83, v83, v84, vcc
	v_mov_b32_e32 v84, 0x3b800000
	v_lshlrev_b32_e32 v80, 20, v80
	v_lshlrev_b32_e32 v82, 31, v82
	v_lshl_add_u32 v83, v83, 23, v84
	v_or3_b32 v80, v82, v83, v80
.LBB8_318:
	s_or_b64 exec, exec, s[2:3]
	s_movk_i32 s0, 0x7f
	v_cmp_gt_i16_sdwa s[2:3], v81, s0 src0_sel:BYTE_1 src1_sel:DWORD
	s_mov_b64 s[0:1], 0
                                        ; implicit-def: $sgpr7
	s_and_saveexec_b64 s[4:5], s[2:3]
	s_xor_b64 s[2:3], exec, s[4:5]
	s_cbranch_execnz .LBB8_831
; %bb.319:
	s_or_saveexec_b64 s[2:3], s[2:3]
	v_mov_b32_e32 v162, s7
	s_xor_b64 exec, exec, s[2:3]
	s_cbranch_execnz .LBB8_834
.LBB8_320:
	s_or_b64 exec, exec, s[2:3]
	s_and_saveexec_b64 s[2:3], s[0:1]
	s_cbranch_execz .LBB8_322
.LBB8_321:
	v_mov_b32_e32 v82, 7
	v_and_b32_sdwa v82, v81, v82 dst_sel:DWORD dst_unused:UNUSED_PAD src0_sel:BYTE_1 src1_sel:DWORD
	v_ffbh_u32_e32 v85, v82
	v_min_u32_e32 v85, 32, v85
	v_lshrrev_b16_e32 v84, 11, v81
	v_subrev_u32_e32 v162, 28, v85
	v_and_b32_e32 v84, 15, v84
	v_lshlrev_b32_e32 v162, v162, v82
	v_sub_u32_e32 v85, 29, v85
	v_and_b32_e32 v162, 7, v162
	v_cmp_eq_u16_e32 vcc, 0, v84
	v_lshrrev_b16_e32 v83, 15, v81
	v_cndmask_b32_e32 v82, v82, v162, vcc
	v_cndmask_b32_e32 v84, v84, v85, vcc
	v_mov_b32_e32 v85, 0x3b800000
	v_lshlrev_b32_e32 v82, 20, v82
	v_lshlrev_b32_e32 v83, 31, v83
	v_lshl_add_u32 v84, v84, 23, v85
	v_or3_b32 v162, v83, v84, v82
.LBB8_322:
	s_or_b64 exec, exec, s[2:3]
	s_movk_i32 s0, 0xff
	v_and_b32_sdwa v82, v81, s0 dst_sel:DWORD dst_unused:UNUSED_PAD src0_sel:WORD_1 src1_sel:DWORD
	s_movk_i32 s0, 0x7f
	v_cmp_lt_i16_e32 vcc, s0, v82
	s_mov_b64 s[0:1], 0
                                        ; implicit-def: $sgpr7
	s_and_saveexec_b64 s[2:3], vcc
	s_xor_b64 s[2:3], exec, s[2:3]
	s_cbranch_execnz .LBB8_835
; %bb.323:
	s_or_saveexec_b64 s[2:3], s[2:3]
	v_mov_b32_e32 v163, s7
	s_xor_b64 exec, exec, s[2:3]
	s_cbranch_execnz .LBB8_838
.LBB8_324:
	s_or_b64 exec, exec, s[2:3]
	s_and_saveexec_b64 s[2:3], s[0:1]
	s_cbranch_execz .LBB8_326
.LBB8_325:
	v_mov_b32_e32 v82, 7
	v_and_b32_sdwa v83, v81, v82 dst_sel:DWORD dst_unused:UNUSED_PAD src0_sel:WORD_1 src1_sel:DWORD
	v_ffbh_u32_e32 v85, v83
	v_mov_b32_e32 v84, 3
	v_min_u32_e32 v85, 32, v85
	v_lshrrev_b16_sdwa v84, v84, v81 dst_sel:DWORD dst_unused:UNUSED_PAD src0_sel:DWORD src1_sel:WORD_1
	v_subrev_u32_e32 v163, 28, v85
	v_and_b32_e32 v84, 15, v84
	v_lshlrev_b32_e32 v163, v163, v83
	v_sub_u32_e32 v85, 29, v85
	v_and_b32_e32 v163, 7, v163
	v_cmp_eq_u16_e32 vcc, 0, v84
	v_lshrrev_b16_sdwa v82, v82, v81 dst_sel:DWORD dst_unused:UNUSED_PAD src0_sel:DWORD src1_sel:WORD_1
	v_cndmask_b32_e32 v83, v83, v163, vcc
	v_cndmask_b32_e32 v84, v84, v85, vcc
	v_mov_b32_e32 v85, 0x3b800000
	v_lshlrev_b32_e32 v83, 20, v83
	v_lshlrev_b32_e32 v82, 31, v82
	v_lshl_add_u32 v84, v84, 23, v85
	v_or3_b32 v163, v82, v84, v83
.LBB8_326:
	s_or_b64 exec, exec, s[2:3]
	v_mov_b32_e32 v82, 8
	v_lshrrev_b16_sdwa v82, v82, v81 dst_sel:DWORD dst_unused:UNUSED_PAD src0_sel:DWORD src1_sel:WORD_1
	s_movk_i32 s0, 0x7f
	v_cmp_lt_i16_e32 vcc, s0, v82
	s_mov_b64 s[0:1], 0
                                        ; implicit-def: $sgpr7
	s_and_saveexec_b64 s[2:3], vcc
	s_xor_b64 s[2:3], exec, s[2:3]
	s_cbranch_execnz .LBB8_839
; %bb.327:
	s_or_saveexec_b64 s[2:3], s[2:3]
	v_mov_b32_e32 v164, s7
	s_xor_b64 exec, exec, s[2:3]
	s_cbranch_execnz .LBB8_842
.LBB8_328:
	s_or_b64 exec, exec, s[2:3]
	s_and_saveexec_b64 s[2:3], s[0:1]
	s_cbranch_execz .LBB8_330
.LBB8_329:
	v_mov_b32_e32 v82, 8
	v_lshrrev_b16_sdwa v82, v82, v81 dst_sel:DWORD dst_unused:UNUSED_PAD src0_sel:DWORD src1_sel:WORD_1
	v_and_b32_e32 v82, 7, v82
	v_mov_b32_e32 v83, 15
	v_mov_b32_e32 v84, 11
	v_lshrrev_b16_sdwa v83, v83, v81 dst_sel:DWORD dst_unused:UNUSED_PAD src0_sel:DWORD src1_sel:WORD_1
	v_lshrrev_b16_sdwa v81, v84, v81 dst_sel:DWORD dst_unused:UNUSED_PAD src0_sel:DWORD src1_sel:WORD_1
	v_ffbh_u32_e32 v84, v82
	v_min_u32_e32 v84, 32, v84
	v_subrev_u32_e32 v85, 28, v84
	v_and_b32_e32 v81, 15, v81
	v_lshlrev_b32_e32 v85, v85, v82
	v_sub_u32_e32 v84, 29, v84
	v_and_b32_e32 v85, 7, v85
	v_cmp_eq_u16_e32 vcc, 0, v81
	v_cndmask_b32_e32 v82, v82, v85, vcc
	v_cndmask_b32_e32 v81, v81, v84, vcc
	v_mov_b32_e32 v84, 0x3b800000
	v_lshlrev_b32_e32 v82, 20, v82
	v_lshlrev_b32_e32 v83, 31, v83
	v_lshl_add_u32 v81, v81, 23, v84
	v_or3_b32 v164, v83, v81, v82
.LBB8_330:
	s_or_b64 exec, exec, s[2:3]
	s_movk_i32 s0, 0x7f
	s_waitcnt lgkmcnt(10)
	v_cmp_gt_i16_sdwa s[2:3], v74, s0 src0_sel:BYTE_0 src1_sel:DWORD
	s_mov_b64 s[0:1], 0
                                        ; implicit-def: $sgpr7
	s_and_saveexec_b64 s[4:5], s[2:3]
	s_xor_b64 s[2:3], exec, s[4:5]
	s_cbranch_execnz .LBB8_843
; %bb.331:
	s_or_saveexec_b64 s[2:3], s[2:3]
	v_mov_b32_e32 v81, s7
	s_xor_b64 exec, exec, s[2:3]
	s_cbranch_execnz .LBB8_846
.LBB8_332:
	s_or_b64 exec, exec, s[2:3]
	s_and_saveexec_b64 s[2:3], s[0:1]
	s_cbranch_execz .LBB8_334
.LBB8_333:
	v_and_b32_e32 v81, 7, v74
	v_ffbh_u32_e32 v84, v81
	v_min_u32_e32 v84, 32, v84
	v_lshrrev_b16_e32 v83, 3, v74
	v_subrev_u32_e32 v85, 28, v84
	v_and_b32_e32 v83, 15, v83
	v_lshlrev_b32_e32 v85, v85, v81
	v_sub_u32_e32 v84, 29, v84
	v_and_b32_e32 v85, 7, v85
	v_cmp_eq_u16_e32 vcc, 0, v83
	v_lshrrev_b16_e32 v82, 7, v74
	v_cndmask_b32_e32 v81, v81, v85, vcc
	v_cndmask_b32_e32 v83, v83, v84, vcc
	v_mov_b32_e32 v84, 0x3b800000
	v_lshlrev_b32_e32 v81, 20, v81
	v_lshlrev_b32_e32 v82, 31, v82
	v_lshl_add_u32 v83, v83, 23, v84
	v_or3_b32 v81, v82, v83, v81
.LBB8_334:
	s_or_b64 exec, exec, s[2:3]
	s_movk_i32 s0, 0x7f
	v_cmp_gt_i16_sdwa s[2:3], v74, s0 src0_sel:BYTE_1 src1_sel:DWORD
	s_mov_b64 s[0:1], 0
                                        ; implicit-def: $sgpr7
	s_and_saveexec_b64 s[4:5], s[2:3]
	s_xor_b64 s[2:3], exec, s[4:5]
	s_cbranch_execnz .LBB8_847
; %bb.335:
	s_or_saveexec_b64 s[2:3], s[2:3]
	v_mov_b32_e32 v165, s7
	s_xor_b64 exec, exec, s[2:3]
	s_cbranch_execnz .LBB8_850
.LBB8_336:
	s_or_b64 exec, exec, s[2:3]
	s_and_saveexec_b64 s[2:3], s[0:1]
	s_cbranch_execz .LBB8_338
.LBB8_337:
	v_mov_b32_e32 v82, 7
	v_and_b32_sdwa v82, v74, v82 dst_sel:DWORD dst_unused:UNUSED_PAD src0_sel:BYTE_1 src1_sel:DWORD
	v_ffbh_u32_e32 v85, v82
	v_min_u32_e32 v85, 32, v85
	v_lshrrev_b16_e32 v84, 11, v74
	v_subrev_u32_e32 v165, 28, v85
	v_and_b32_e32 v84, 15, v84
	v_lshlrev_b32_e32 v165, v165, v82
	v_sub_u32_e32 v85, 29, v85
	v_and_b32_e32 v165, 7, v165
	v_cmp_eq_u16_e32 vcc, 0, v84
	v_lshrrev_b16_e32 v83, 15, v74
	v_cndmask_b32_e32 v82, v82, v165, vcc
	v_cndmask_b32_e32 v84, v84, v85, vcc
	v_mov_b32_e32 v85, 0x3b800000
	v_lshlrev_b32_e32 v82, 20, v82
	v_lshlrev_b32_e32 v83, 31, v83
	v_lshl_add_u32 v84, v84, 23, v85
	v_or3_b32 v165, v83, v84, v82
.LBB8_338:
	s_or_b64 exec, exec, s[2:3]
	s_movk_i32 s0, 0xff
	v_and_b32_sdwa v82, v74, s0 dst_sel:DWORD dst_unused:UNUSED_PAD src0_sel:WORD_1 src1_sel:DWORD
	s_movk_i32 s0, 0x7f
	v_cmp_lt_i16_e32 vcc, s0, v82
	s_mov_b64 s[0:1], 0
                                        ; implicit-def: $sgpr7
	s_and_saveexec_b64 s[2:3], vcc
	s_xor_b64 s[2:3], exec, s[2:3]
	s_cbranch_execnz .LBB8_851
; %bb.339:
	s_or_saveexec_b64 s[2:3], s[2:3]
	v_mov_b32_e32 v166, s7
	s_xor_b64 exec, exec, s[2:3]
	s_cbranch_execnz .LBB8_854
.LBB8_340:
	s_or_b64 exec, exec, s[2:3]
	s_and_saveexec_b64 s[2:3], s[0:1]
	s_cbranch_execz .LBB8_342
.LBB8_341:
	v_mov_b32_e32 v82, 7
	v_and_b32_sdwa v83, v74, v82 dst_sel:DWORD dst_unused:UNUSED_PAD src0_sel:WORD_1 src1_sel:DWORD
	v_ffbh_u32_e32 v85, v83
	v_mov_b32_e32 v84, 3
	v_min_u32_e32 v85, 32, v85
	v_lshrrev_b16_sdwa v84, v84, v74 dst_sel:DWORD dst_unused:UNUSED_PAD src0_sel:DWORD src1_sel:WORD_1
	v_subrev_u32_e32 v166, 28, v85
	v_and_b32_e32 v84, 15, v84
	v_lshlrev_b32_e32 v166, v166, v83
	v_sub_u32_e32 v85, 29, v85
	v_and_b32_e32 v166, 7, v166
	v_cmp_eq_u16_e32 vcc, 0, v84
	v_lshrrev_b16_sdwa v82, v82, v74 dst_sel:DWORD dst_unused:UNUSED_PAD src0_sel:DWORD src1_sel:WORD_1
	v_cndmask_b32_e32 v83, v83, v166, vcc
	v_cndmask_b32_e32 v84, v84, v85, vcc
	v_mov_b32_e32 v85, 0x3b800000
	v_lshlrev_b32_e32 v83, 20, v83
	v_lshlrev_b32_e32 v82, 31, v82
	v_lshl_add_u32 v84, v84, 23, v85
	v_or3_b32 v166, v82, v84, v83
.LBB8_342:
	s_or_b64 exec, exec, s[2:3]
	v_mov_b32_e32 v82, 8
	v_lshrrev_b16_sdwa v82, v82, v74 dst_sel:DWORD dst_unused:UNUSED_PAD src0_sel:DWORD src1_sel:WORD_1
	s_movk_i32 s0, 0x7f
	v_cmp_lt_i16_e32 vcc, s0, v82
	s_mov_b64 s[0:1], 0
                                        ; implicit-def: $sgpr7
	s_and_saveexec_b64 s[2:3], vcc
	s_xor_b64 s[2:3], exec, s[2:3]
	s_cbranch_execnz .LBB8_855
; %bb.343:
	s_or_saveexec_b64 s[2:3], s[2:3]
	v_mov_b32_e32 v167, s7
	s_xor_b64 exec, exec, s[2:3]
	s_cbranch_execnz .LBB8_858
.LBB8_344:
	s_or_b64 exec, exec, s[2:3]
	s_and_saveexec_b64 s[2:3], s[0:1]
	s_cbranch_execz .LBB8_346
.LBB8_345:
	v_mov_b32_e32 v82, 8
	v_lshrrev_b16_sdwa v82, v82, v74 dst_sel:DWORD dst_unused:UNUSED_PAD src0_sel:DWORD src1_sel:WORD_1
	v_and_b32_e32 v82, 7, v82
	v_mov_b32_e32 v83, 15
	v_mov_b32_e32 v84, 11
	v_lshrrev_b16_sdwa v83, v83, v74 dst_sel:DWORD dst_unused:UNUSED_PAD src0_sel:DWORD src1_sel:WORD_1
	v_lshrrev_b16_sdwa v74, v84, v74 dst_sel:DWORD dst_unused:UNUSED_PAD src0_sel:DWORD src1_sel:WORD_1
	v_ffbh_u32_e32 v84, v82
	v_min_u32_e32 v84, 32, v84
	v_subrev_u32_e32 v85, 28, v84
	v_and_b32_e32 v74, 15, v74
	v_lshlrev_b32_e32 v85, v85, v82
	v_sub_u32_e32 v84, 29, v84
	v_and_b32_e32 v85, 7, v85
	v_cmp_eq_u16_e32 vcc, 0, v74
	v_cndmask_b32_e32 v82, v82, v85, vcc
	v_cndmask_b32_e32 v74, v74, v84, vcc
	v_mov_b32_e32 v84, 0x3b800000
	v_lshlrev_b32_e32 v82, 20, v82
	v_lshlrev_b32_e32 v83, 31, v83
	v_lshl_add_u32 v74, v74, 23, v84
	v_or3_b32 v167, v83, v74, v82
.LBB8_346:
	s_or_b64 exec, exec, s[2:3]
	s_movk_i32 s0, 0x7f
	v_cmp_gt_i16_sdwa s[2:3], v75, s0 src0_sel:BYTE_0 src1_sel:DWORD
	s_mov_b64 s[0:1], 0
                                        ; implicit-def: $sgpr7
	s_and_saveexec_b64 s[4:5], s[2:3]
	s_xor_b64 s[2:3], exec, s[4:5]
	s_cbranch_execnz .LBB8_859
; %bb.347:
	s_or_saveexec_b64 s[2:3], s[2:3]
	v_mov_b32_e32 v74, s7
	s_xor_b64 exec, exec, s[2:3]
	s_cbranch_execnz .LBB8_862
.LBB8_348:
	s_or_b64 exec, exec, s[2:3]
	s_and_saveexec_b64 s[2:3], s[0:1]
	s_cbranch_execz .LBB8_350
.LBB8_349:
	v_and_b32_e32 v74, 7, v75
	v_ffbh_u32_e32 v84, v74
	v_min_u32_e32 v84, 32, v84
	v_lshrrev_b16_e32 v83, 3, v75
	v_subrev_u32_e32 v85, 28, v84
	v_and_b32_e32 v83, 15, v83
	v_lshlrev_b32_e32 v85, v85, v74
	v_sub_u32_e32 v84, 29, v84
	v_and_b32_e32 v85, 7, v85
	v_cmp_eq_u16_e32 vcc, 0, v83
	v_lshrrev_b16_e32 v82, 7, v75
	v_cndmask_b32_e32 v74, v74, v85, vcc
	v_cndmask_b32_e32 v83, v83, v84, vcc
	v_mov_b32_e32 v84, 0x3b800000
	v_lshlrev_b32_e32 v74, 20, v74
	v_lshlrev_b32_e32 v82, 31, v82
	v_lshl_add_u32 v83, v83, 23, v84
	v_or3_b32 v74, v82, v83, v74
.LBB8_350:
	s_or_b64 exec, exec, s[2:3]
	s_movk_i32 s0, 0x7f
	v_cmp_gt_i16_sdwa s[2:3], v75, s0 src0_sel:BYTE_1 src1_sel:DWORD
	s_mov_b64 s[0:1], 0
                                        ; implicit-def: $sgpr7
	s_and_saveexec_b64 s[4:5], s[2:3]
	s_xor_b64 s[2:3], exec, s[4:5]
	s_cbranch_execnz .LBB8_863
; %bb.351:
	s_or_saveexec_b64 s[2:3], s[2:3]
	v_mov_b32_e32 v168, s7
	s_xor_b64 exec, exec, s[2:3]
	s_cbranch_execnz .LBB8_866
.LBB8_352:
	s_or_b64 exec, exec, s[2:3]
	s_and_saveexec_b64 s[2:3], s[0:1]
	s_cbranch_execz .LBB8_354
.LBB8_353:
	v_mov_b32_e32 v82, 7
	v_and_b32_sdwa v82, v75, v82 dst_sel:DWORD dst_unused:UNUSED_PAD src0_sel:BYTE_1 src1_sel:DWORD
	v_ffbh_u32_e32 v85, v82
	v_min_u32_e32 v85, 32, v85
	v_lshrrev_b16_e32 v84, 11, v75
	v_subrev_u32_e32 v168, 28, v85
	v_and_b32_e32 v84, 15, v84
	v_lshlrev_b32_e32 v168, v168, v82
	v_sub_u32_e32 v85, 29, v85
	v_and_b32_e32 v168, 7, v168
	v_cmp_eq_u16_e32 vcc, 0, v84
	v_lshrrev_b16_e32 v83, 15, v75
	v_cndmask_b32_e32 v82, v82, v168, vcc
	v_cndmask_b32_e32 v84, v84, v85, vcc
	v_mov_b32_e32 v85, 0x3b800000
	v_lshlrev_b32_e32 v82, 20, v82
	v_lshlrev_b32_e32 v83, 31, v83
	v_lshl_add_u32 v84, v84, 23, v85
	v_or3_b32 v168, v83, v84, v82
.LBB8_354:
	s_or_b64 exec, exec, s[2:3]
	s_movk_i32 s0, 0xff
	v_and_b32_sdwa v82, v75, s0 dst_sel:DWORD dst_unused:UNUSED_PAD src0_sel:WORD_1 src1_sel:DWORD
	s_movk_i32 s0, 0x7f
	v_cmp_lt_i16_e32 vcc, s0, v82
	s_mov_b64 s[0:1], 0
                                        ; implicit-def: $sgpr7
	s_and_saveexec_b64 s[2:3], vcc
	s_xor_b64 s[2:3], exec, s[2:3]
	s_cbranch_execnz .LBB8_867
; %bb.355:
	s_or_saveexec_b64 s[2:3], s[2:3]
	v_mov_b32_e32 v169, s7
	s_xor_b64 exec, exec, s[2:3]
	s_cbranch_execnz .LBB8_870
.LBB8_356:
	s_or_b64 exec, exec, s[2:3]
	s_and_saveexec_b64 s[2:3], s[0:1]
	s_cbranch_execz .LBB8_358
.LBB8_357:
	v_mov_b32_e32 v82, 7
	v_and_b32_sdwa v83, v75, v82 dst_sel:DWORD dst_unused:UNUSED_PAD src0_sel:WORD_1 src1_sel:DWORD
	v_ffbh_u32_e32 v85, v83
	v_mov_b32_e32 v84, 3
	v_min_u32_e32 v85, 32, v85
	v_lshrrev_b16_sdwa v84, v84, v75 dst_sel:DWORD dst_unused:UNUSED_PAD src0_sel:DWORD src1_sel:WORD_1
	v_subrev_u32_e32 v169, 28, v85
	v_and_b32_e32 v84, 15, v84
	v_lshlrev_b32_e32 v169, v169, v83
	v_sub_u32_e32 v85, 29, v85
	v_and_b32_e32 v169, 7, v169
	v_cmp_eq_u16_e32 vcc, 0, v84
	v_lshrrev_b16_sdwa v82, v82, v75 dst_sel:DWORD dst_unused:UNUSED_PAD src0_sel:DWORD src1_sel:WORD_1
	v_cndmask_b32_e32 v83, v83, v169, vcc
	v_cndmask_b32_e32 v84, v84, v85, vcc
	v_mov_b32_e32 v85, 0x3b800000
	v_lshlrev_b32_e32 v83, 20, v83
	v_lshlrev_b32_e32 v82, 31, v82
	v_lshl_add_u32 v84, v84, 23, v85
	v_or3_b32 v169, v82, v84, v83
.LBB8_358:
	s_or_b64 exec, exec, s[2:3]
	v_mov_b32_e32 v82, 8
	v_lshrrev_b16_sdwa v82, v82, v75 dst_sel:DWORD dst_unused:UNUSED_PAD src0_sel:DWORD src1_sel:WORD_1
	s_movk_i32 s0, 0x7f
	v_cmp_lt_i16_e32 vcc, s0, v82
	s_mov_b64 s[0:1], 0
                                        ; implicit-def: $sgpr7
	s_and_saveexec_b64 s[2:3], vcc
	s_xor_b64 s[2:3], exec, s[2:3]
	s_cbranch_execnz .LBB8_871
; %bb.359:
	s_or_saveexec_b64 s[2:3], s[2:3]
	v_mov_b32_e32 v170, s7
	s_xor_b64 exec, exec, s[2:3]
	s_cbranch_execnz .LBB8_874
.LBB8_360:
	s_or_b64 exec, exec, s[2:3]
	s_and_saveexec_b64 s[2:3], s[0:1]
	s_cbranch_execz .LBB8_362
.LBB8_361:
	v_mov_b32_e32 v82, 8
	v_lshrrev_b16_sdwa v82, v82, v75 dst_sel:DWORD dst_unused:UNUSED_PAD src0_sel:DWORD src1_sel:WORD_1
	v_and_b32_e32 v82, 7, v82
	v_mov_b32_e32 v83, 15
	v_mov_b32_e32 v84, 11
	v_lshrrev_b16_sdwa v83, v83, v75 dst_sel:DWORD dst_unused:UNUSED_PAD src0_sel:DWORD src1_sel:WORD_1
	v_lshrrev_b16_sdwa v75, v84, v75 dst_sel:DWORD dst_unused:UNUSED_PAD src0_sel:DWORD src1_sel:WORD_1
	v_ffbh_u32_e32 v84, v82
	v_min_u32_e32 v84, 32, v84
	v_subrev_u32_e32 v85, 28, v84
	v_and_b32_e32 v75, 15, v75
	v_lshlrev_b32_e32 v85, v85, v82
	v_sub_u32_e32 v84, 29, v84
	v_and_b32_e32 v85, 7, v85
	v_cmp_eq_u16_e32 vcc, 0, v75
	v_cndmask_b32_e32 v82, v82, v85, vcc
	v_cndmask_b32_e32 v75, v75, v84, vcc
	v_mov_b32_e32 v84, 0x3b800000
	v_lshlrev_b32_e32 v82, 20, v82
	v_lshlrev_b32_e32 v83, 31, v83
	v_lshl_add_u32 v75, v75, 23, v84
	v_or3_b32 v170, v83, v75, v82
.LBB8_362:
	s_or_b64 exec, exec, s[2:3]
	s_movk_i32 s0, 0x7f
	v_cmp_gt_i16_sdwa s[2:3], v76, s0 src0_sel:BYTE_0 src1_sel:DWORD
	s_mov_b64 s[0:1], 0
                                        ; implicit-def: $sgpr7
	s_and_saveexec_b64 s[4:5], s[2:3]
	s_xor_b64 s[2:3], exec, s[4:5]
	s_cbranch_execnz .LBB8_875
; %bb.363:
	s_or_saveexec_b64 s[2:3], s[2:3]
	v_mov_b32_e32 v75, s7
	s_xor_b64 exec, exec, s[2:3]
	s_cbranch_execnz .LBB8_878
.LBB8_364:
	s_or_b64 exec, exec, s[2:3]
	s_and_saveexec_b64 s[2:3], s[0:1]
	s_cbranch_execz .LBB8_366
.LBB8_365:
	v_and_b32_e32 v75, 7, v76
	v_ffbh_u32_e32 v84, v75
	v_min_u32_e32 v84, 32, v84
	v_lshrrev_b16_e32 v83, 3, v76
	v_subrev_u32_e32 v85, 28, v84
	v_and_b32_e32 v83, 15, v83
	v_lshlrev_b32_e32 v85, v85, v75
	v_sub_u32_e32 v84, 29, v84
	v_and_b32_e32 v85, 7, v85
	v_cmp_eq_u16_e32 vcc, 0, v83
	v_lshrrev_b16_e32 v82, 7, v76
	v_cndmask_b32_e32 v75, v75, v85, vcc
	v_cndmask_b32_e32 v83, v83, v84, vcc
	v_mov_b32_e32 v84, 0x3b800000
	v_lshlrev_b32_e32 v75, 20, v75
	v_lshlrev_b32_e32 v82, 31, v82
	v_lshl_add_u32 v83, v83, 23, v84
	v_or3_b32 v75, v82, v83, v75
.LBB8_366:
	s_or_b64 exec, exec, s[2:3]
	s_movk_i32 s0, 0x7f
	v_cmp_gt_i16_sdwa s[2:3], v76, s0 src0_sel:BYTE_1 src1_sel:DWORD
	s_mov_b64 s[0:1], 0
                                        ; implicit-def: $sgpr7
	s_and_saveexec_b64 s[4:5], s[2:3]
	s_xor_b64 s[2:3], exec, s[4:5]
	s_cbranch_execnz .LBB8_879
; %bb.367:
	s_or_saveexec_b64 s[2:3], s[2:3]
	v_mov_b32_e32 v171, s7
	s_xor_b64 exec, exec, s[2:3]
	s_cbranch_execnz .LBB8_882
.LBB8_368:
	s_or_b64 exec, exec, s[2:3]
	s_and_saveexec_b64 s[2:3], s[0:1]
	s_cbranch_execz .LBB8_370
.LBB8_369:
	v_mov_b32_e32 v82, 7
	v_and_b32_sdwa v82, v76, v82 dst_sel:DWORD dst_unused:UNUSED_PAD src0_sel:BYTE_1 src1_sel:DWORD
	v_ffbh_u32_e32 v85, v82
	v_min_u32_e32 v85, 32, v85
	v_lshrrev_b16_e32 v84, 11, v76
	v_subrev_u32_e32 v171, 28, v85
	v_and_b32_e32 v84, 15, v84
	v_lshlrev_b32_e32 v171, v171, v82
	v_sub_u32_e32 v85, 29, v85
	v_and_b32_e32 v171, 7, v171
	v_cmp_eq_u16_e32 vcc, 0, v84
	v_lshrrev_b16_e32 v83, 15, v76
	v_cndmask_b32_e32 v82, v82, v171, vcc
	v_cndmask_b32_e32 v84, v84, v85, vcc
	v_mov_b32_e32 v85, 0x3b800000
	v_lshlrev_b32_e32 v82, 20, v82
	v_lshlrev_b32_e32 v83, 31, v83
	v_lshl_add_u32 v84, v84, 23, v85
	v_or3_b32 v171, v83, v84, v82
.LBB8_370:
	s_or_b64 exec, exec, s[2:3]
	s_movk_i32 s0, 0xff
	v_and_b32_sdwa v82, v76, s0 dst_sel:DWORD dst_unused:UNUSED_PAD src0_sel:WORD_1 src1_sel:DWORD
	s_movk_i32 s0, 0x7f
	v_cmp_lt_i16_e32 vcc, s0, v82
	s_mov_b64 s[0:1], 0
                                        ; implicit-def: $sgpr7
	s_and_saveexec_b64 s[2:3], vcc
	s_xor_b64 s[2:3], exec, s[2:3]
	s_cbranch_execnz .LBB8_883
; %bb.371:
	s_or_saveexec_b64 s[2:3], s[2:3]
	v_mov_b32_e32 v172, s7
	s_xor_b64 exec, exec, s[2:3]
	s_cbranch_execnz .LBB8_886
.LBB8_372:
	s_or_b64 exec, exec, s[2:3]
	s_and_saveexec_b64 s[2:3], s[0:1]
	s_cbranch_execz .LBB8_374
.LBB8_373:
	v_mov_b32_e32 v82, 7
	v_and_b32_sdwa v83, v76, v82 dst_sel:DWORD dst_unused:UNUSED_PAD src0_sel:WORD_1 src1_sel:DWORD
	v_ffbh_u32_e32 v85, v83
	v_mov_b32_e32 v84, 3
	v_min_u32_e32 v85, 32, v85
	v_lshrrev_b16_sdwa v84, v84, v76 dst_sel:DWORD dst_unused:UNUSED_PAD src0_sel:DWORD src1_sel:WORD_1
	v_subrev_u32_e32 v172, 28, v85
	v_and_b32_e32 v84, 15, v84
	v_lshlrev_b32_e32 v172, v172, v83
	v_sub_u32_e32 v85, 29, v85
	v_and_b32_e32 v172, 7, v172
	v_cmp_eq_u16_e32 vcc, 0, v84
	v_lshrrev_b16_sdwa v82, v82, v76 dst_sel:DWORD dst_unused:UNUSED_PAD src0_sel:DWORD src1_sel:WORD_1
	v_cndmask_b32_e32 v83, v83, v172, vcc
	v_cndmask_b32_e32 v84, v84, v85, vcc
	v_mov_b32_e32 v85, 0x3b800000
	v_lshlrev_b32_e32 v83, 20, v83
	v_lshlrev_b32_e32 v82, 31, v82
	v_lshl_add_u32 v84, v84, 23, v85
	v_or3_b32 v172, v82, v84, v83
.LBB8_374:
	s_or_b64 exec, exec, s[2:3]
	v_mov_b32_e32 v82, 8
	v_lshrrev_b16_sdwa v82, v82, v76 dst_sel:DWORD dst_unused:UNUSED_PAD src0_sel:DWORD src1_sel:WORD_1
	s_movk_i32 s0, 0x7f
	v_cmp_lt_i16_e32 vcc, s0, v82
	s_mov_b64 s[0:1], 0
                                        ; implicit-def: $sgpr7
	s_and_saveexec_b64 s[2:3], vcc
	s_xor_b64 s[2:3], exec, s[2:3]
	s_cbranch_execnz .LBB8_887
; %bb.375:
	s_or_saveexec_b64 s[2:3], s[2:3]
	v_mov_b32_e32 v173, s7
	s_xor_b64 exec, exec, s[2:3]
	s_cbranch_execnz .LBB8_890
.LBB8_376:
	s_or_b64 exec, exec, s[2:3]
	s_and_saveexec_b64 s[2:3], s[0:1]
	s_cbranch_execz .LBB8_378
.LBB8_377:
	v_mov_b32_e32 v82, 8
	v_lshrrev_b16_sdwa v82, v82, v76 dst_sel:DWORD dst_unused:UNUSED_PAD src0_sel:DWORD src1_sel:WORD_1
	v_and_b32_e32 v82, 7, v82
	v_mov_b32_e32 v83, 15
	v_mov_b32_e32 v84, 11
	v_lshrrev_b16_sdwa v83, v83, v76 dst_sel:DWORD dst_unused:UNUSED_PAD src0_sel:DWORD src1_sel:WORD_1
	v_lshrrev_b16_sdwa v76, v84, v76 dst_sel:DWORD dst_unused:UNUSED_PAD src0_sel:DWORD src1_sel:WORD_1
	v_ffbh_u32_e32 v84, v82
	v_min_u32_e32 v84, 32, v84
	v_subrev_u32_e32 v85, 28, v84
	v_and_b32_e32 v76, 15, v76
	v_lshlrev_b32_e32 v85, v85, v82
	v_sub_u32_e32 v84, 29, v84
	v_and_b32_e32 v85, 7, v85
	v_cmp_eq_u16_e32 vcc, 0, v76
	v_cndmask_b32_e32 v82, v82, v85, vcc
	v_cndmask_b32_e32 v76, v76, v84, vcc
	v_mov_b32_e32 v84, 0x3b800000
	v_lshlrev_b32_e32 v82, 20, v82
	v_lshlrev_b32_e32 v83, 31, v83
	v_lshl_add_u32 v76, v76, 23, v84
	v_or3_b32 v173, v83, v76, v82
.LBB8_378:
	s_or_b64 exec, exec, s[2:3]
	s_movk_i32 s0, 0x7f
	v_cmp_gt_i16_sdwa s[2:3], v77, s0 src0_sel:BYTE_0 src1_sel:DWORD
	s_mov_b64 s[0:1], 0
                                        ; implicit-def: $sgpr7
	s_and_saveexec_b64 s[4:5], s[2:3]
	s_xor_b64 s[2:3], exec, s[4:5]
	s_cbranch_execnz .LBB8_891
; %bb.379:
	s_or_saveexec_b64 s[2:3], s[2:3]
	v_mov_b32_e32 v76, s7
	s_xor_b64 exec, exec, s[2:3]
	s_cbranch_execnz .LBB8_894
.LBB8_380:
	s_or_b64 exec, exec, s[2:3]
	s_and_saveexec_b64 s[2:3], s[0:1]
	s_cbranch_execz .LBB8_382
.LBB8_381:
	v_and_b32_e32 v76, 7, v77
	v_ffbh_u32_e32 v84, v76
	v_min_u32_e32 v84, 32, v84
	v_lshrrev_b16_e32 v83, 3, v77
	v_subrev_u32_e32 v85, 28, v84
	v_and_b32_e32 v83, 15, v83
	v_lshlrev_b32_e32 v85, v85, v76
	v_sub_u32_e32 v84, 29, v84
	v_and_b32_e32 v85, 7, v85
	v_cmp_eq_u16_e32 vcc, 0, v83
	v_lshrrev_b16_e32 v82, 7, v77
	v_cndmask_b32_e32 v76, v76, v85, vcc
	v_cndmask_b32_e32 v83, v83, v84, vcc
	v_mov_b32_e32 v84, 0x3b800000
	v_lshlrev_b32_e32 v76, 20, v76
	v_lshlrev_b32_e32 v82, 31, v82
	v_lshl_add_u32 v83, v83, 23, v84
	v_or3_b32 v76, v82, v83, v76
.LBB8_382:
	s_or_b64 exec, exec, s[2:3]
	s_movk_i32 s0, 0x7f
	v_cmp_gt_i16_sdwa s[2:3], v77, s0 src0_sel:BYTE_1 src1_sel:DWORD
	s_mov_b64 s[0:1], 0
                                        ; implicit-def: $sgpr7
	s_and_saveexec_b64 s[4:5], s[2:3]
	s_xor_b64 s[2:3], exec, s[4:5]
	s_cbranch_execnz .LBB8_895
; %bb.383:
	s_or_saveexec_b64 s[2:3], s[2:3]
	v_mov_b32_e32 v174, s7
	s_xor_b64 exec, exec, s[2:3]
	s_cbranch_execnz .LBB8_898
.LBB8_384:
	s_or_b64 exec, exec, s[2:3]
	s_and_saveexec_b64 s[2:3], s[0:1]
	s_cbranch_execz .LBB8_386
.LBB8_385:
	v_mov_b32_e32 v82, 7
	v_and_b32_sdwa v82, v77, v82 dst_sel:DWORD dst_unused:UNUSED_PAD src0_sel:BYTE_1 src1_sel:DWORD
	v_ffbh_u32_e32 v85, v82
	v_min_u32_e32 v85, 32, v85
	v_lshrrev_b16_e32 v84, 11, v77
	v_subrev_u32_e32 v174, 28, v85
	v_and_b32_e32 v84, 15, v84
	v_lshlrev_b32_e32 v174, v174, v82
	v_sub_u32_e32 v85, 29, v85
	v_and_b32_e32 v174, 7, v174
	v_cmp_eq_u16_e32 vcc, 0, v84
	v_lshrrev_b16_e32 v83, 15, v77
	v_cndmask_b32_e32 v82, v82, v174, vcc
	v_cndmask_b32_e32 v84, v84, v85, vcc
	v_mov_b32_e32 v85, 0x3b800000
	v_lshlrev_b32_e32 v82, 20, v82
	v_lshlrev_b32_e32 v83, 31, v83
	v_lshl_add_u32 v84, v84, 23, v85
	v_or3_b32 v174, v83, v84, v82
.LBB8_386:
	s_or_b64 exec, exec, s[2:3]
	s_movk_i32 s0, 0xff
	v_and_b32_sdwa v82, v77, s0 dst_sel:DWORD dst_unused:UNUSED_PAD src0_sel:WORD_1 src1_sel:DWORD
	s_movk_i32 s0, 0x7f
	v_cmp_lt_i16_e32 vcc, s0, v82
	s_mov_b64 s[0:1], 0
                                        ; implicit-def: $sgpr7
	s_and_saveexec_b64 s[2:3], vcc
	s_xor_b64 s[2:3], exec, s[2:3]
	s_cbranch_execnz .LBB8_899
; %bb.387:
	s_or_saveexec_b64 s[2:3], s[2:3]
	v_mov_b32_e32 v175, s7
	s_xor_b64 exec, exec, s[2:3]
	s_cbranch_execnz .LBB8_902
.LBB8_388:
	s_or_b64 exec, exec, s[2:3]
	s_and_saveexec_b64 s[2:3], s[0:1]
	s_cbranch_execz .LBB8_390
.LBB8_389:
	v_mov_b32_e32 v82, 7
	v_and_b32_sdwa v83, v77, v82 dst_sel:DWORD dst_unused:UNUSED_PAD src0_sel:WORD_1 src1_sel:DWORD
	v_ffbh_u32_e32 v85, v83
	v_mov_b32_e32 v84, 3
	v_min_u32_e32 v85, 32, v85
	v_lshrrev_b16_sdwa v84, v84, v77 dst_sel:DWORD dst_unused:UNUSED_PAD src0_sel:DWORD src1_sel:WORD_1
	v_subrev_u32_e32 v175, 28, v85
	v_and_b32_e32 v84, 15, v84
	v_lshlrev_b32_e32 v175, v175, v83
	v_sub_u32_e32 v85, 29, v85
	v_and_b32_e32 v175, 7, v175
	v_cmp_eq_u16_e32 vcc, 0, v84
	v_lshrrev_b16_sdwa v82, v82, v77 dst_sel:DWORD dst_unused:UNUSED_PAD src0_sel:DWORD src1_sel:WORD_1
	v_cndmask_b32_e32 v83, v83, v175, vcc
	v_cndmask_b32_e32 v84, v84, v85, vcc
	v_mov_b32_e32 v85, 0x3b800000
	v_lshlrev_b32_e32 v83, 20, v83
	v_lshlrev_b32_e32 v82, 31, v82
	v_lshl_add_u32 v84, v84, 23, v85
	v_or3_b32 v175, v82, v84, v83
.LBB8_390:
	s_or_b64 exec, exec, s[2:3]
	v_mov_b32_e32 v82, 8
	v_lshrrev_b16_sdwa v82, v82, v77 dst_sel:DWORD dst_unused:UNUSED_PAD src0_sel:DWORD src1_sel:WORD_1
	s_movk_i32 s0, 0x7f
	v_cmp_lt_i16_e32 vcc, s0, v82
	s_mov_b64 s[0:1], 0
                                        ; implicit-def: $sgpr7
	s_and_saveexec_b64 s[2:3], vcc
	s_xor_b64 s[2:3], exec, s[2:3]
	s_cbranch_execnz .LBB8_903
; %bb.391:
	s_or_saveexec_b64 s[2:3], s[2:3]
	v_mov_b32_e32 v176, s7
	s_xor_b64 exec, exec, s[2:3]
	s_cbranch_execnz .LBB8_906
.LBB8_392:
	s_or_b64 exec, exec, s[2:3]
	s_and_saveexec_b64 s[2:3], s[0:1]
	s_cbranch_execz .LBB8_394
.LBB8_393:
	v_mov_b32_e32 v82, 8
	v_lshrrev_b16_sdwa v82, v82, v77 dst_sel:DWORD dst_unused:UNUSED_PAD src0_sel:DWORD src1_sel:WORD_1
	v_and_b32_e32 v82, 7, v82
	v_mov_b32_e32 v83, 15
	v_mov_b32_e32 v84, 11
	v_lshrrev_b16_sdwa v83, v83, v77 dst_sel:DWORD dst_unused:UNUSED_PAD src0_sel:DWORD src1_sel:WORD_1
	v_lshrrev_b16_sdwa v77, v84, v77 dst_sel:DWORD dst_unused:UNUSED_PAD src0_sel:DWORD src1_sel:WORD_1
	v_ffbh_u32_e32 v84, v82
	v_min_u32_e32 v84, 32, v84
	v_subrev_u32_e32 v85, 28, v84
	v_and_b32_e32 v77, 15, v77
	v_lshlrev_b32_e32 v85, v85, v82
	v_sub_u32_e32 v84, 29, v84
	v_and_b32_e32 v85, 7, v85
	v_cmp_eq_u16_e32 vcc, 0, v77
	v_cndmask_b32_e32 v82, v82, v85, vcc
	v_cndmask_b32_e32 v77, v77, v84, vcc
	v_mov_b32_e32 v84, 0x3b800000
	v_lshlrev_b32_e32 v82, 20, v82
	v_lshlrev_b32_e32 v83, 31, v83
	v_lshl_add_u32 v77, v77, 23, v84
	v_or3_b32 v176, v83, v77, v82
.LBB8_394:
	s_or_b64 exec, exec, s[2:3]
	s_movk_i32 s0, 0x7f
	s_waitcnt lgkmcnt(9)
	v_cmp_gt_i16_sdwa s[2:3], v70, s0 src0_sel:BYTE_0 src1_sel:DWORD
	s_mov_b64 s[0:1], 0
                                        ; implicit-def: $sgpr7
	s_and_saveexec_b64 s[4:5], s[2:3]
	s_xor_b64 s[2:3], exec, s[4:5]
	s_cbranch_execnz .LBB8_907
; %bb.395:
	s_or_saveexec_b64 s[2:3], s[2:3]
	v_mov_b32_e32 v77, s7
	s_xor_b64 exec, exec, s[2:3]
	s_cbranch_execnz .LBB8_910
.LBB8_396:
	s_or_b64 exec, exec, s[2:3]
	s_and_saveexec_b64 s[2:3], s[0:1]
	s_cbranch_execz .LBB8_398
.LBB8_397:
	v_and_b32_e32 v77, 7, v70
	v_ffbh_u32_e32 v84, v77
	v_min_u32_e32 v84, 32, v84
	v_lshrrev_b16_e32 v83, 3, v70
	v_subrev_u32_e32 v85, 28, v84
	v_and_b32_e32 v83, 15, v83
	v_lshlrev_b32_e32 v85, v85, v77
	v_sub_u32_e32 v84, 29, v84
	v_and_b32_e32 v85, 7, v85
	v_cmp_eq_u16_e32 vcc, 0, v83
	v_lshrrev_b16_e32 v82, 7, v70
	v_cndmask_b32_e32 v77, v77, v85, vcc
	v_cndmask_b32_e32 v83, v83, v84, vcc
	v_mov_b32_e32 v84, 0x3b800000
	v_lshlrev_b32_e32 v77, 20, v77
	v_lshlrev_b32_e32 v82, 31, v82
	v_lshl_add_u32 v83, v83, 23, v84
	v_or3_b32 v77, v82, v83, v77
.LBB8_398:
	s_or_b64 exec, exec, s[2:3]
	s_movk_i32 s0, 0x7f
	v_cmp_gt_i16_sdwa s[2:3], v70, s0 src0_sel:BYTE_1 src1_sel:DWORD
	s_mov_b64 s[0:1], 0
                                        ; implicit-def: $sgpr7
	s_and_saveexec_b64 s[4:5], s[2:3]
	s_xor_b64 s[2:3], exec, s[4:5]
	s_cbranch_execnz .LBB8_911
; %bb.399:
	s_or_saveexec_b64 s[2:3], s[2:3]
	v_mov_b32_e32 v177, s7
	s_xor_b64 exec, exec, s[2:3]
	s_cbranch_execnz .LBB8_914
.LBB8_400:
	s_or_b64 exec, exec, s[2:3]
	s_and_saveexec_b64 s[2:3], s[0:1]
	s_cbranch_execz .LBB8_402
.LBB8_401:
	v_mov_b32_e32 v82, 7
	v_and_b32_sdwa v82, v70, v82 dst_sel:DWORD dst_unused:UNUSED_PAD src0_sel:BYTE_1 src1_sel:DWORD
	v_ffbh_u32_e32 v85, v82
	v_min_u32_e32 v85, 32, v85
	v_lshrrev_b16_e32 v84, 11, v70
	v_subrev_u32_e32 v177, 28, v85
	v_and_b32_e32 v84, 15, v84
	v_lshlrev_b32_e32 v177, v177, v82
	v_sub_u32_e32 v85, 29, v85
	v_and_b32_e32 v177, 7, v177
	v_cmp_eq_u16_e32 vcc, 0, v84
	v_lshrrev_b16_e32 v83, 15, v70
	v_cndmask_b32_e32 v82, v82, v177, vcc
	v_cndmask_b32_e32 v84, v84, v85, vcc
	v_mov_b32_e32 v85, 0x3b800000
	v_lshlrev_b32_e32 v82, 20, v82
	v_lshlrev_b32_e32 v83, 31, v83
	v_lshl_add_u32 v84, v84, 23, v85
	v_or3_b32 v177, v83, v84, v82
.LBB8_402:
	s_or_b64 exec, exec, s[2:3]
	s_movk_i32 s0, 0xff
	v_and_b32_sdwa v82, v70, s0 dst_sel:DWORD dst_unused:UNUSED_PAD src0_sel:WORD_1 src1_sel:DWORD
	s_movk_i32 s0, 0x7f
	v_cmp_lt_i16_e32 vcc, s0, v82
	s_mov_b64 s[0:1], 0
                                        ; implicit-def: $sgpr7
	s_and_saveexec_b64 s[2:3], vcc
	s_xor_b64 s[2:3], exec, s[2:3]
	s_cbranch_execnz .LBB8_915
; %bb.403:
	s_or_saveexec_b64 s[2:3], s[2:3]
	v_mov_b32_e32 v178, s7
	s_xor_b64 exec, exec, s[2:3]
	s_cbranch_execnz .LBB8_918
.LBB8_404:
	s_or_b64 exec, exec, s[2:3]
	s_and_saveexec_b64 s[2:3], s[0:1]
	s_cbranch_execz .LBB8_406
.LBB8_405:
	v_mov_b32_e32 v82, 7
	v_and_b32_sdwa v83, v70, v82 dst_sel:DWORD dst_unused:UNUSED_PAD src0_sel:WORD_1 src1_sel:DWORD
	v_ffbh_u32_e32 v85, v83
	v_mov_b32_e32 v84, 3
	v_min_u32_e32 v85, 32, v85
	v_lshrrev_b16_sdwa v84, v84, v70 dst_sel:DWORD dst_unused:UNUSED_PAD src0_sel:DWORD src1_sel:WORD_1
	v_subrev_u32_e32 v178, 28, v85
	v_and_b32_e32 v84, 15, v84
	v_lshlrev_b32_e32 v178, v178, v83
	v_sub_u32_e32 v85, 29, v85
	v_and_b32_e32 v178, 7, v178
	v_cmp_eq_u16_e32 vcc, 0, v84
	v_lshrrev_b16_sdwa v82, v82, v70 dst_sel:DWORD dst_unused:UNUSED_PAD src0_sel:DWORD src1_sel:WORD_1
	v_cndmask_b32_e32 v83, v83, v178, vcc
	v_cndmask_b32_e32 v84, v84, v85, vcc
	v_mov_b32_e32 v85, 0x3b800000
	v_lshlrev_b32_e32 v83, 20, v83
	v_lshlrev_b32_e32 v82, 31, v82
	v_lshl_add_u32 v84, v84, 23, v85
	v_or3_b32 v178, v82, v84, v83
.LBB8_406:
	s_or_b64 exec, exec, s[2:3]
	v_mov_b32_e32 v82, 8
	v_lshrrev_b16_sdwa v82, v82, v70 dst_sel:DWORD dst_unused:UNUSED_PAD src0_sel:DWORD src1_sel:WORD_1
	s_movk_i32 s0, 0x7f
	v_cmp_lt_i16_e32 vcc, s0, v82
	s_mov_b64 s[0:1], 0
                                        ; implicit-def: $sgpr7
	s_and_saveexec_b64 s[2:3], vcc
	s_xor_b64 s[2:3], exec, s[2:3]
	s_cbranch_execnz .LBB8_919
; %bb.407:
	s_or_saveexec_b64 s[2:3], s[2:3]
	v_mov_b32_e32 v179, s7
	s_xor_b64 exec, exec, s[2:3]
	s_cbranch_execnz .LBB8_922
.LBB8_408:
	s_or_b64 exec, exec, s[2:3]
	s_and_saveexec_b64 s[2:3], s[0:1]
	s_cbranch_execz .LBB8_410
.LBB8_409:
	v_mov_b32_e32 v82, 8
	v_lshrrev_b16_sdwa v82, v82, v70 dst_sel:DWORD dst_unused:UNUSED_PAD src0_sel:DWORD src1_sel:WORD_1
	v_and_b32_e32 v82, 7, v82
	v_mov_b32_e32 v83, 15
	v_mov_b32_e32 v84, 11
	v_lshrrev_b16_sdwa v83, v83, v70 dst_sel:DWORD dst_unused:UNUSED_PAD src0_sel:DWORD src1_sel:WORD_1
	v_lshrrev_b16_sdwa v70, v84, v70 dst_sel:DWORD dst_unused:UNUSED_PAD src0_sel:DWORD src1_sel:WORD_1
	v_ffbh_u32_e32 v84, v82
	v_min_u32_e32 v84, 32, v84
	v_subrev_u32_e32 v85, 28, v84
	v_and_b32_e32 v70, 15, v70
	v_lshlrev_b32_e32 v85, v85, v82
	v_sub_u32_e32 v84, 29, v84
	v_and_b32_e32 v85, 7, v85
	v_cmp_eq_u16_e32 vcc, 0, v70
	v_cndmask_b32_e32 v82, v82, v85, vcc
	v_cndmask_b32_e32 v70, v70, v84, vcc
	v_mov_b32_e32 v84, 0x3b800000
	v_lshlrev_b32_e32 v82, 20, v82
	v_lshlrev_b32_e32 v83, 31, v83
	v_lshl_add_u32 v70, v70, 23, v84
	v_or3_b32 v179, v83, v70, v82
.LBB8_410:
	s_or_b64 exec, exec, s[2:3]
	s_movk_i32 s0, 0x7f
	v_cmp_gt_i16_sdwa s[2:3], v71, s0 src0_sel:BYTE_0 src1_sel:DWORD
	s_mov_b64 s[0:1], 0
                                        ; implicit-def: $sgpr7
	s_and_saveexec_b64 s[4:5], s[2:3]
	s_xor_b64 s[2:3], exec, s[4:5]
	s_cbranch_execnz .LBB8_923
; %bb.411:
	s_or_saveexec_b64 s[2:3], s[2:3]
	v_mov_b32_e32 v70, s7
	s_xor_b64 exec, exec, s[2:3]
	s_cbranch_execnz .LBB8_926
.LBB8_412:
	s_or_b64 exec, exec, s[2:3]
	s_and_saveexec_b64 s[2:3], s[0:1]
	s_cbranch_execz .LBB8_414
.LBB8_413:
	v_and_b32_e32 v70, 7, v71
	v_ffbh_u32_e32 v84, v70
	v_min_u32_e32 v84, 32, v84
	v_lshrrev_b16_e32 v83, 3, v71
	v_subrev_u32_e32 v85, 28, v84
	v_and_b32_e32 v83, 15, v83
	v_lshlrev_b32_e32 v85, v85, v70
	v_sub_u32_e32 v84, 29, v84
	v_and_b32_e32 v85, 7, v85
	v_cmp_eq_u16_e32 vcc, 0, v83
	v_lshrrev_b16_e32 v82, 7, v71
	v_cndmask_b32_e32 v70, v70, v85, vcc
	v_cndmask_b32_e32 v83, v83, v84, vcc
	v_mov_b32_e32 v84, 0x3b800000
	v_lshlrev_b32_e32 v70, 20, v70
	v_lshlrev_b32_e32 v82, 31, v82
	v_lshl_add_u32 v83, v83, 23, v84
	v_or3_b32 v70, v82, v83, v70
.LBB8_414:
	s_or_b64 exec, exec, s[2:3]
	s_movk_i32 s0, 0x7f
	v_cmp_gt_i16_sdwa s[2:3], v71, s0 src0_sel:BYTE_1 src1_sel:DWORD
	s_mov_b64 s[0:1], 0
                                        ; implicit-def: $sgpr7
	s_and_saveexec_b64 s[4:5], s[2:3]
	s_xor_b64 s[2:3], exec, s[4:5]
	s_cbranch_execnz .LBB8_927
; %bb.415:
	s_or_saveexec_b64 s[2:3], s[2:3]
	v_mov_b32_e32 v180, s7
	s_xor_b64 exec, exec, s[2:3]
	s_cbranch_execnz .LBB8_930
.LBB8_416:
	s_or_b64 exec, exec, s[2:3]
	s_and_saveexec_b64 s[2:3], s[0:1]
	s_cbranch_execz .LBB8_418
.LBB8_417:
	v_mov_b32_e32 v82, 7
	v_and_b32_sdwa v82, v71, v82 dst_sel:DWORD dst_unused:UNUSED_PAD src0_sel:BYTE_1 src1_sel:DWORD
	v_ffbh_u32_e32 v85, v82
	v_min_u32_e32 v85, 32, v85
	v_lshrrev_b16_e32 v84, 11, v71
	v_subrev_u32_e32 v180, 28, v85
	v_and_b32_e32 v84, 15, v84
	v_lshlrev_b32_e32 v180, v180, v82
	v_sub_u32_e32 v85, 29, v85
	v_and_b32_e32 v180, 7, v180
	v_cmp_eq_u16_e32 vcc, 0, v84
	v_lshrrev_b16_e32 v83, 15, v71
	v_cndmask_b32_e32 v82, v82, v180, vcc
	v_cndmask_b32_e32 v84, v84, v85, vcc
	v_mov_b32_e32 v85, 0x3b800000
	v_lshlrev_b32_e32 v82, 20, v82
	v_lshlrev_b32_e32 v83, 31, v83
	v_lshl_add_u32 v84, v84, 23, v85
	v_or3_b32 v180, v83, v84, v82
.LBB8_418:
	s_or_b64 exec, exec, s[2:3]
	s_movk_i32 s0, 0xff
	v_and_b32_sdwa v82, v71, s0 dst_sel:DWORD dst_unused:UNUSED_PAD src0_sel:WORD_1 src1_sel:DWORD
	s_movk_i32 s0, 0x7f
	v_cmp_lt_i16_e32 vcc, s0, v82
	s_mov_b64 s[0:1], 0
                                        ; implicit-def: $sgpr7
	s_and_saveexec_b64 s[2:3], vcc
	s_xor_b64 s[2:3], exec, s[2:3]
	s_cbranch_execnz .LBB8_931
; %bb.419:
	s_or_saveexec_b64 s[2:3], s[2:3]
	v_mov_b32_e32 v181, s7
	s_xor_b64 exec, exec, s[2:3]
	s_cbranch_execnz .LBB8_934
.LBB8_420:
	s_or_b64 exec, exec, s[2:3]
	s_and_saveexec_b64 s[2:3], s[0:1]
	s_cbranch_execz .LBB8_422
.LBB8_421:
	v_mov_b32_e32 v82, 7
	v_and_b32_sdwa v83, v71, v82 dst_sel:DWORD dst_unused:UNUSED_PAD src0_sel:WORD_1 src1_sel:DWORD
	v_ffbh_u32_e32 v85, v83
	v_mov_b32_e32 v84, 3
	v_min_u32_e32 v85, 32, v85
	v_lshrrev_b16_sdwa v84, v84, v71 dst_sel:DWORD dst_unused:UNUSED_PAD src0_sel:DWORD src1_sel:WORD_1
	v_subrev_u32_e32 v181, 28, v85
	v_and_b32_e32 v84, 15, v84
	v_lshlrev_b32_e32 v181, v181, v83
	v_sub_u32_e32 v85, 29, v85
	v_and_b32_e32 v181, 7, v181
	v_cmp_eq_u16_e32 vcc, 0, v84
	v_lshrrev_b16_sdwa v82, v82, v71 dst_sel:DWORD dst_unused:UNUSED_PAD src0_sel:DWORD src1_sel:WORD_1
	v_cndmask_b32_e32 v83, v83, v181, vcc
	v_cndmask_b32_e32 v84, v84, v85, vcc
	v_mov_b32_e32 v85, 0x3b800000
	v_lshlrev_b32_e32 v83, 20, v83
	v_lshlrev_b32_e32 v82, 31, v82
	v_lshl_add_u32 v84, v84, 23, v85
	v_or3_b32 v181, v82, v84, v83
.LBB8_422:
	s_or_b64 exec, exec, s[2:3]
	v_mov_b32_e32 v82, 8
	v_lshrrev_b16_sdwa v82, v82, v71 dst_sel:DWORD dst_unused:UNUSED_PAD src0_sel:DWORD src1_sel:WORD_1
	s_movk_i32 s0, 0x7f
	v_cmp_lt_i16_e32 vcc, s0, v82
	s_mov_b64 s[0:1], 0
                                        ; implicit-def: $sgpr7
	s_and_saveexec_b64 s[2:3], vcc
	s_xor_b64 s[2:3], exec, s[2:3]
	s_cbranch_execnz .LBB8_935
; %bb.423:
	s_or_saveexec_b64 s[2:3], s[2:3]
	v_mov_b32_e32 v182, s7
	s_xor_b64 exec, exec, s[2:3]
	s_cbranch_execnz .LBB8_938
.LBB8_424:
	s_or_b64 exec, exec, s[2:3]
	s_and_saveexec_b64 s[2:3], s[0:1]
	s_cbranch_execz .LBB8_426
.LBB8_425:
	v_mov_b32_e32 v82, 8
	v_lshrrev_b16_sdwa v82, v82, v71 dst_sel:DWORD dst_unused:UNUSED_PAD src0_sel:DWORD src1_sel:WORD_1
	v_and_b32_e32 v82, 7, v82
	v_mov_b32_e32 v83, 15
	v_mov_b32_e32 v84, 11
	v_lshrrev_b16_sdwa v83, v83, v71 dst_sel:DWORD dst_unused:UNUSED_PAD src0_sel:DWORD src1_sel:WORD_1
	v_lshrrev_b16_sdwa v71, v84, v71 dst_sel:DWORD dst_unused:UNUSED_PAD src0_sel:DWORD src1_sel:WORD_1
	v_ffbh_u32_e32 v84, v82
	v_min_u32_e32 v84, 32, v84
	v_subrev_u32_e32 v85, 28, v84
	v_and_b32_e32 v71, 15, v71
	v_lshlrev_b32_e32 v85, v85, v82
	v_sub_u32_e32 v84, 29, v84
	v_and_b32_e32 v85, 7, v85
	v_cmp_eq_u16_e32 vcc, 0, v71
	v_cndmask_b32_e32 v82, v82, v85, vcc
	v_cndmask_b32_e32 v71, v71, v84, vcc
	v_mov_b32_e32 v84, 0x3b800000
	v_lshlrev_b32_e32 v82, 20, v82
	v_lshlrev_b32_e32 v83, 31, v83
	v_lshl_add_u32 v71, v71, 23, v84
	v_or3_b32 v182, v83, v71, v82
.LBB8_426:
	s_or_b64 exec, exec, s[2:3]
	s_movk_i32 s0, 0x7f
	v_cmp_gt_i16_sdwa s[2:3], v72, s0 src0_sel:BYTE_0 src1_sel:DWORD
	s_mov_b64 s[0:1], 0
                                        ; implicit-def: $sgpr7
	s_and_saveexec_b64 s[4:5], s[2:3]
	s_xor_b64 s[2:3], exec, s[4:5]
	s_cbranch_execnz .LBB8_939
; %bb.427:
	s_or_saveexec_b64 s[2:3], s[2:3]
	v_mov_b32_e32 v71, s7
	s_xor_b64 exec, exec, s[2:3]
	s_cbranch_execnz .LBB8_942
.LBB8_428:
	s_or_b64 exec, exec, s[2:3]
	s_and_saveexec_b64 s[2:3], s[0:1]
	s_cbranch_execz .LBB8_430
.LBB8_429:
	v_and_b32_e32 v71, 7, v72
	v_ffbh_u32_e32 v84, v71
	v_min_u32_e32 v84, 32, v84
	v_lshrrev_b16_e32 v83, 3, v72
	v_subrev_u32_e32 v85, 28, v84
	v_and_b32_e32 v83, 15, v83
	v_lshlrev_b32_e32 v85, v85, v71
	v_sub_u32_e32 v84, 29, v84
	v_and_b32_e32 v85, 7, v85
	v_cmp_eq_u16_e32 vcc, 0, v83
	v_lshrrev_b16_e32 v82, 7, v72
	v_cndmask_b32_e32 v71, v71, v85, vcc
	v_cndmask_b32_e32 v83, v83, v84, vcc
	v_mov_b32_e32 v84, 0x3b800000
	v_lshlrev_b32_e32 v71, 20, v71
	v_lshlrev_b32_e32 v82, 31, v82
	v_lshl_add_u32 v83, v83, 23, v84
	v_or3_b32 v71, v82, v83, v71
.LBB8_430:
	s_or_b64 exec, exec, s[2:3]
	s_movk_i32 s0, 0x7f
	v_cmp_gt_i16_sdwa s[2:3], v72, s0 src0_sel:BYTE_1 src1_sel:DWORD
	s_mov_b64 s[0:1], 0
                                        ; implicit-def: $sgpr7
	s_and_saveexec_b64 s[4:5], s[2:3]
	s_xor_b64 s[2:3], exec, s[4:5]
	s_cbranch_execnz .LBB8_943
; %bb.431:
	s_or_saveexec_b64 s[2:3], s[2:3]
	v_mov_b32_e32 v84, s7
	s_xor_b64 exec, exec, s[2:3]
	s_cbranch_execnz .LBB8_946
.LBB8_432:
	s_or_b64 exec, exec, s[2:3]
	s_and_saveexec_b64 s[2:3], s[0:1]
	s_cbranch_execz .LBB8_434
.LBB8_433:
	v_mov_b32_e32 v82, 7
	v_and_b32_sdwa v82, v72, v82 dst_sel:DWORD dst_unused:UNUSED_PAD src0_sel:BYTE_1 src1_sel:DWORD
	v_ffbh_u32_e32 v85, v82
	v_min_u32_e32 v85, 32, v85
	v_lshrrev_b16_e32 v84, 11, v72
	v_subrev_u32_e32 v183, 28, v85
	v_and_b32_e32 v84, 15, v84
	v_lshlrev_b32_e32 v183, v183, v82
	v_sub_u32_e32 v85, 29, v85
	v_and_b32_e32 v183, 7, v183
	v_cmp_eq_u16_e32 vcc, 0, v84
	v_lshrrev_b16_e32 v83, 15, v72
	v_cndmask_b32_e32 v82, v82, v183, vcc
	v_cndmask_b32_e32 v84, v84, v85, vcc
	v_mov_b32_e32 v85, 0x3b800000
	v_lshlrev_b32_e32 v82, 20, v82
	v_lshlrev_b32_e32 v83, 31, v83
	v_lshl_add_u32 v84, v84, 23, v85
	v_or3_b32 v84, v83, v84, v82
.LBB8_434:
	s_or_b64 exec, exec, s[2:3]
	s_movk_i32 s0, 0xff
	v_and_b32_sdwa v82, v72, s0 dst_sel:DWORD dst_unused:UNUSED_PAD src0_sel:WORD_1 src1_sel:DWORD
	s_movk_i32 s0, 0x7f
	v_cmp_lt_i16_e32 vcc, s0, v82
	s_mov_b64 s[0:1], 0
                                        ; implicit-def: $sgpr7
	s_and_saveexec_b64 s[2:3], vcc
	s_xor_b64 s[2:3], exec, s[2:3]
	s_cbranch_execnz .LBB8_947
; %bb.435:
	s_or_saveexec_b64 s[2:3], s[2:3]
	v_mov_b32_e32 v85, s7
	s_xor_b64 exec, exec, s[2:3]
	s_cbranch_execnz .LBB8_950
.LBB8_436:
	s_or_b64 exec, exec, s[2:3]
	s_and_saveexec_b64 s[2:3], s[0:1]
	s_cbranch_execz .LBB8_438
.LBB8_437:
	v_mov_b32_e32 v82, 7
	v_and_b32_sdwa v83, v72, v82 dst_sel:DWORD dst_unused:UNUSED_PAD src0_sel:WORD_1 src1_sel:DWORD
	v_ffbh_u32_e32 v183, v83
	v_mov_b32_e32 v85, 3
	v_min_u32_e32 v183, 32, v183
	v_lshrrev_b16_sdwa v85, v85, v72 dst_sel:DWORD dst_unused:UNUSED_PAD src0_sel:DWORD src1_sel:WORD_1
	v_subrev_u32_e32 v184, 28, v183
	v_and_b32_e32 v85, 15, v85
	v_lshlrev_b32_e32 v184, v184, v83
	v_sub_u32_e32 v183, 29, v183
	v_and_b32_e32 v184, 7, v184
	v_cmp_eq_u16_e32 vcc, 0, v85
	v_lshrrev_b16_sdwa v82, v82, v72 dst_sel:DWORD dst_unused:UNUSED_PAD src0_sel:DWORD src1_sel:WORD_1
	v_cndmask_b32_e32 v83, v83, v184, vcc
	v_cndmask_b32_e32 v85, v85, v183, vcc
	v_mov_b32_e32 v183, 0x3b800000
	v_lshlrev_b32_e32 v83, 20, v83
	v_lshlrev_b32_e32 v82, 31, v82
	v_lshl_add_u32 v85, v85, 23, v183
	v_or3_b32 v85, v82, v85, v83
.LBB8_438:
	s_or_b64 exec, exec, s[2:3]
	v_mov_b32_e32 v82, 8
	v_lshrrev_b16_sdwa v82, v82, v72 dst_sel:DWORD dst_unused:UNUSED_PAD src0_sel:DWORD src1_sel:WORD_1
	s_movk_i32 s0, 0x7f
	v_cmp_lt_i16_e32 vcc, s0, v82
	s_mov_b64 s[0:1], 0
                                        ; implicit-def: $sgpr7
	s_and_saveexec_b64 s[2:3], vcc
	s_xor_b64 s[2:3], exec, s[2:3]
	s_cbranch_execnz .LBB8_951
; %bb.439:
	s_or_saveexec_b64 s[2:3], s[2:3]
	v_mov_b32_e32 v183, s7
	s_xor_b64 exec, exec, s[2:3]
	s_cbranch_execnz .LBB8_954
.LBB8_440:
	s_or_b64 exec, exec, s[2:3]
	s_and_saveexec_b64 s[2:3], s[0:1]
	s_cbranch_execz .LBB8_442
.LBB8_441:
	v_mov_b32_e32 v82, 8
	v_lshrrev_b16_sdwa v82, v82, v72 dst_sel:DWORD dst_unused:UNUSED_PAD src0_sel:DWORD src1_sel:WORD_1
	v_and_b32_e32 v82, 7, v82
	v_mov_b32_e32 v83, 15
	v_mov_b32_e32 v183, 11
	v_lshrrev_b16_sdwa v83, v83, v72 dst_sel:DWORD dst_unused:UNUSED_PAD src0_sel:DWORD src1_sel:WORD_1
	v_lshrrev_b16_sdwa v72, v183, v72 dst_sel:DWORD dst_unused:UNUSED_PAD src0_sel:DWORD src1_sel:WORD_1
	v_ffbh_u32_e32 v183, v82
	v_min_u32_e32 v183, 32, v183
	v_subrev_u32_e32 v184, 28, v183
	v_and_b32_e32 v72, 15, v72
	v_lshlrev_b32_e32 v184, v184, v82
	v_sub_u32_e32 v183, 29, v183
	v_and_b32_e32 v184, 7, v184
	v_cmp_eq_u16_e32 vcc, 0, v72
	v_cndmask_b32_e32 v82, v82, v184, vcc
	v_cndmask_b32_e32 v72, v72, v183, vcc
	v_mov_b32_e32 v183, 0x3b800000
	v_lshlrev_b32_e32 v82, 20, v82
	v_lshlrev_b32_e32 v83, 31, v83
	v_lshl_add_u32 v72, v72, 23, v183
	v_or3_b32 v183, v83, v72, v82
.LBB8_442:
	s_or_b64 exec, exec, s[2:3]
	s_movk_i32 s0, 0x7f
	v_cmp_gt_i16_sdwa s[2:3], v73, s0 src0_sel:BYTE_0 src1_sel:DWORD
	s_mov_b64 s[0:1], 0
                                        ; implicit-def: $sgpr7
	s_and_saveexec_b64 s[4:5], s[2:3]
	s_xor_b64 s[2:3], exec, s[4:5]
	s_cbranch_execnz .LBB8_955
; %bb.443:
	s_or_saveexec_b64 s[2:3], s[2:3]
	v_mov_b32_e32 v72, s7
	s_xor_b64 exec, exec, s[2:3]
	s_cbranch_execnz .LBB8_958
.LBB8_444:
	s_or_b64 exec, exec, s[2:3]
	s_and_saveexec_b64 s[2:3], s[0:1]
	s_cbranch_execz .LBB8_446
.LBB8_445:
	v_and_b32_e32 v72, 7, v73
	v_ffbh_u32_e32 v184, v72
	v_min_u32_e32 v184, 32, v184
	v_lshrrev_b16_e32 v83, 3, v73
	v_subrev_u32_e32 v185, 28, v184
	v_and_b32_e32 v83, 15, v83
	v_lshlrev_b32_e32 v185, v185, v72
	v_sub_u32_e32 v184, 29, v184
	v_and_b32_e32 v185, 7, v185
	v_cmp_eq_u16_e32 vcc, 0, v83
	v_lshrrev_b16_e32 v82, 7, v73
	v_cndmask_b32_e32 v72, v72, v185, vcc
	v_cndmask_b32_e32 v83, v83, v184, vcc
	v_mov_b32_e32 v184, 0x3b800000
	v_lshlrev_b32_e32 v72, 20, v72
	v_lshlrev_b32_e32 v82, 31, v82
	v_lshl_add_u32 v83, v83, 23, v184
	v_or3_b32 v72, v82, v83, v72
.LBB8_446:
	s_or_b64 exec, exec, s[2:3]
	s_movk_i32 s0, 0x7f
	v_cmp_gt_i16_sdwa s[2:3], v73, s0 src0_sel:BYTE_1 src1_sel:DWORD
	s_mov_b64 s[0:1], 0
                                        ; implicit-def: $sgpr7
	s_and_saveexec_b64 s[4:5], s[2:3]
	s_xor_b64 s[2:3], exec, s[4:5]
	s_cbranch_execnz .LBB8_959
; %bb.447:
	s_or_saveexec_b64 s[2:3], s[2:3]
	v_mov_b32_e32 v82, s7
	s_xor_b64 exec, exec, s[2:3]
	s_cbranch_execnz .LBB8_962
.LBB8_448:
	s_or_b64 exec, exec, s[2:3]
	s_and_saveexec_b64 s[2:3], s[0:1]
	s_cbranch_execz .LBB8_450
.LBB8_449:
	v_mov_b32_e32 v82, 7
	v_and_b32_sdwa v82, v73, v82 dst_sel:DWORD dst_unused:UNUSED_PAD src0_sel:BYTE_1 src1_sel:DWORD
	v_ffbh_u32_e32 v185, v82
	v_min_u32_e32 v185, 32, v185
	v_lshrrev_b16_e32 v184, 11, v73
	v_subrev_u32_e32 v186, 28, v185
	v_and_b32_e32 v184, 15, v184
	v_lshlrev_b32_e32 v186, v186, v82
	v_sub_u32_e32 v185, 29, v185
	v_and_b32_e32 v186, 7, v186
	v_cmp_eq_u16_e32 vcc, 0, v184
	v_lshrrev_b16_e32 v83, 15, v73
	v_cndmask_b32_e32 v82, v82, v186, vcc
	v_cndmask_b32_e32 v184, v184, v185, vcc
	v_mov_b32_e32 v185, 0x3b800000
	v_lshlrev_b32_e32 v82, 20, v82
	v_lshlrev_b32_e32 v83, 31, v83
	v_lshl_add_u32 v184, v184, 23, v185
	v_or3_b32 v82, v83, v184, v82
.LBB8_450:
	s_or_b64 exec, exec, s[2:3]
	s_movk_i32 s0, 0xff
	v_and_b32_sdwa v184, v73, s0 dst_sel:DWORD dst_unused:UNUSED_PAD src0_sel:WORD_1 src1_sel:DWORD
	s_movk_i32 s0, 0x7f
	v_cmp_lt_i16_e32 vcc, s0, v184
	s_mov_b64 s[0:1], 0
                                        ; implicit-def: $sgpr7
	s_and_saveexec_b64 s[2:3], vcc
	s_xor_b64 s[2:3], exec, s[2:3]
	s_cbranch_execnz .LBB8_963
; %bb.451:
	s_or_saveexec_b64 s[2:3], s[2:3]
	v_mov_b32_e32 v83, s7
	s_xor_b64 exec, exec, s[2:3]
	s_cbranch_execnz .LBB8_966
.LBB8_452:
	s_or_b64 exec, exec, s[2:3]
	s_and_saveexec_b64 s[2:3], s[0:1]
	s_cbranch_execz .LBB8_454
.LBB8_453:
	v_mov_b32_e32 v83, 7
	v_and_b32_sdwa v184, v73, v83 dst_sel:DWORD dst_unused:UNUSED_PAD src0_sel:WORD_1 src1_sel:DWORD
	v_ffbh_u32_e32 v186, v184
	v_mov_b32_e32 v185, 3
	v_min_u32_e32 v186, 32, v186
	v_lshrrev_b16_sdwa v185, v185, v73 dst_sel:DWORD dst_unused:UNUSED_PAD src0_sel:DWORD src1_sel:WORD_1
	v_subrev_u32_e32 v187, 28, v186
	v_and_b32_e32 v185, 15, v185
	v_lshlrev_b32_e32 v187, v187, v184
	v_sub_u32_e32 v186, 29, v186
	v_and_b32_e32 v187, 7, v187
	v_cmp_eq_u16_e32 vcc, 0, v185
	v_lshrrev_b16_sdwa v83, v83, v73 dst_sel:DWORD dst_unused:UNUSED_PAD src0_sel:DWORD src1_sel:WORD_1
	v_cndmask_b32_e32 v184, v184, v187, vcc
	v_cndmask_b32_e32 v185, v185, v186, vcc
	v_mov_b32_e32 v186, 0x3b800000
	v_lshlrev_b32_e32 v184, 20, v184
	v_lshlrev_b32_e32 v83, 31, v83
	v_lshl_add_u32 v185, v185, 23, v186
	v_or3_b32 v83, v83, v185, v184
.LBB8_454:
	s_or_b64 exec, exec, s[2:3]
	v_mov_b32_e32 v184, 8
	v_lshrrev_b16_sdwa v185, v184, v73 dst_sel:DWORD dst_unused:UNUSED_PAD src0_sel:DWORD src1_sel:WORD_1
	s_movk_i32 s0, 0x7f
	v_cmp_lt_i16_e32 vcc, s0, v185
	s_mov_b64 s[0:1], 0
                                        ; implicit-def: $sgpr7
	s_and_saveexec_b64 s[2:3], vcc
	s_xor_b64 s[2:3], exec, s[2:3]
	s_cbranch_execnz .LBB8_967
; %bb.455:
	s_or_saveexec_b64 s[2:3], s[2:3]
	v_mov_b32_e32 v184, s7
	s_xor_b64 exec, exec, s[2:3]
	s_cbranch_execnz .LBB8_970
.LBB8_456:
	s_or_b64 exec, exec, s[2:3]
	s_and_saveexec_b64 s[2:3], s[0:1]
	s_cbranch_execz .LBB8_458
.LBB8_457:
	v_mov_b32_e32 v184, 8
	v_lshrrev_b16_sdwa v184, v184, v73 dst_sel:DWORD dst_unused:UNUSED_PAD src0_sel:DWORD src1_sel:WORD_1
	v_and_b32_e32 v184, 7, v184
	v_mov_b32_e32 v185, 15
	v_mov_b32_e32 v186, 11
	v_lshrrev_b16_sdwa v185, v185, v73 dst_sel:DWORD dst_unused:UNUSED_PAD src0_sel:DWORD src1_sel:WORD_1
	v_lshrrev_b16_sdwa v73, v186, v73 dst_sel:DWORD dst_unused:UNUSED_PAD src0_sel:DWORD src1_sel:WORD_1
	v_ffbh_u32_e32 v186, v184
	v_min_u32_e32 v186, 32, v186
	v_subrev_u32_e32 v187, 28, v186
	v_and_b32_e32 v73, 15, v73
	v_lshlrev_b32_e32 v187, v187, v184
	v_sub_u32_e32 v186, 29, v186
	v_and_b32_e32 v187, 7, v187
	v_cmp_eq_u16_e32 vcc, 0, v73
	v_cndmask_b32_e32 v184, v184, v187, vcc
	v_cndmask_b32_e32 v73, v73, v186, vcc
	v_mov_b32_e32 v186, 0x3b800000
	v_lshlrev_b32_e32 v184, 20, v184
	v_lshlrev_b32_e32 v185, 31, v185
	v_lshl_add_u32 v73, v73, 23, v186
	v_or3_b32 v184, v185, v73, v184
.LBB8_458:
	s_or_b64 exec, exec, s[2:3]
	s_movk_i32 s0, 0x7f
	s_waitcnt lgkmcnt(8)
	v_cmp_gt_i16_sdwa s[2:3], v66, s0 src0_sel:BYTE_0 src1_sel:DWORD
	s_mov_b64 s[0:1], 0
                                        ; implicit-def: $sgpr7
	s_and_saveexec_b64 s[4:5], s[2:3]
	s_xor_b64 s[2:3], exec, s[4:5]
	s_cbranch_execnz .LBB8_971
; %bb.459:
	s_or_saveexec_b64 s[2:3], s[2:3]
	v_mov_b32_e32 v185, s7
	s_xor_b64 exec, exec, s[2:3]
	s_cbranch_execnz .LBB8_974
.LBB8_460:
	s_or_b64 exec, exec, s[2:3]
	s_and_saveexec_b64 s[2:3], s[0:1]
	s_cbranch_execz .LBB8_462
.LBB8_461:
	v_and_b32_e32 v73, 7, v66
	v_ffbh_u32_e32 v187, v73
	v_min_u32_e32 v187, 32, v187
	v_lshrrev_b16_e32 v186, 3, v66
	v_subrev_u32_e32 v188, 28, v187
	v_and_b32_e32 v186, 15, v186
	v_lshlrev_b32_e32 v188, v188, v73
	v_sub_u32_e32 v187, 29, v187
	v_and_b32_e32 v188, 7, v188
	v_cmp_eq_u16_e32 vcc, 0, v186
	v_lshrrev_b16_e32 v185, 7, v66
	v_cndmask_b32_e32 v73, v73, v188, vcc
	v_cndmask_b32_e32 v186, v186, v187, vcc
	v_mov_b32_e32 v187, 0x3b800000
	v_lshlrev_b32_e32 v73, 20, v73
	v_lshlrev_b32_e32 v185, 31, v185
	v_lshl_add_u32 v186, v186, 23, v187
	v_or3_b32 v185, v185, v186, v73
.LBB8_462:
	s_or_b64 exec, exec, s[2:3]
	s_movk_i32 s0, 0x7f
	v_cmp_gt_i16_sdwa s[2:3], v66, s0 src0_sel:BYTE_1 src1_sel:DWORD
	s_mov_b64 s[0:1], 0
                                        ; implicit-def: $sgpr7
	s_and_saveexec_b64 s[4:5], s[2:3]
	s_xor_b64 s[2:3], exec, s[4:5]
	s_cbranch_execnz .LBB8_975
; %bb.463:
	s_or_saveexec_b64 s[2:3], s[2:3]
	v_mov_b32_e32 v186, s7
	s_xor_b64 exec, exec, s[2:3]
	s_cbranch_execnz .LBB8_978
.LBB8_464:
	s_or_b64 exec, exec, s[2:3]
	s_and_saveexec_b64 s[2:3], s[0:1]
	s_cbranch_execz .LBB8_466
.LBB8_465:
	v_mov_b32_e32 v73, 7
	v_and_b32_sdwa v73, v66, v73 dst_sel:DWORD dst_unused:UNUSED_PAD src0_sel:BYTE_1 src1_sel:DWORD
	v_ffbh_u32_e32 v188, v73
	v_min_u32_e32 v188, 32, v188
	v_lshrrev_b16_e32 v187, 11, v66
	v_subrev_u32_e32 v189, 28, v188
	v_and_b32_e32 v187, 15, v187
	v_lshlrev_b32_e32 v189, v189, v73
	v_sub_u32_e32 v188, 29, v188
	v_and_b32_e32 v189, 7, v189
	v_cmp_eq_u16_e32 vcc, 0, v187
	v_lshrrev_b16_e32 v186, 15, v66
	v_cndmask_b32_e32 v73, v73, v189, vcc
	v_cndmask_b32_e32 v187, v187, v188, vcc
	v_mov_b32_e32 v188, 0x3b800000
	v_lshlrev_b32_e32 v73, 20, v73
	v_lshlrev_b32_e32 v186, 31, v186
	v_lshl_add_u32 v187, v187, 23, v188
	v_or3_b32 v186, v186, v187, v73
.LBB8_466:
	s_or_b64 exec, exec, s[2:3]
	s_movk_i32 s0, 0xff
	v_and_b32_sdwa v73, v66, s0 dst_sel:DWORD dst_unused:UNUSED_PAD src0_sel:WORD_1 src1_sel:DWORD
	s_movk_i32 s0, 0x7f
	v_cmp_lt_i16_e32 vcc, s0, v73
	s_mov_b64 s[0:1], 0
                                        ; implicit-def: $sgpr7
	s_and_saveexec_b64 s[2:3], vcc
	s_xor_b64 s[2:3], exec, s[2:3]
	s_cbranch_execnz .LBB8_979
; %bb.467:
	s_or_saveexec_b64 s[2:3], s[2:3]
	v_mov_b32_e32 v187, s7
	s_xor_b64 exec, exec, s[2:3]
	s_cbranch_execnz .LBB8_982
.LBB8_468:
	s_or_b64 exec, exec, s[2:3]
	s_and_saveexec_b64 s[2:3], s[0:1]
	s_cbranch_execz .LBB8_470
.LBB8_469:
	v_mov_b32_e32 v73, 7
	v_and_b32_sdwa v187, v66, v73 dst_sel:DWORD dst_unused:UNUSED_PAD src0_sel:WORD_1 src1_sel:DWORD
	v_ffbh_u32_e32 v189, v187
	v_mov_b32_e32 v188, 3
	v_min_u32_e32 v189, 32, v189
	v_lshrrev_b16_sdwa v188, v188, v66 dst_sel:DWORD dst_unused:UNUSED_PAD src0_sel:DWORD src1_sel:WORD_1
	v_subrev_u32_e32 v190, 28, v189
	v_and_b32_e32 v188, 15, v188
	v_lshlrev_b32_e32 v190, v190, v187
	v_sub_u32_e32 v189, 29, v189
	v_and_b32_e32 v190, 7, v190
	v_cmp_eq_u16_e32 vcc, 0, v188
	v_lshrrev_b16_sdwa v73, v73, v66 dst_sel:DWORD dst_unused:UNUSED_PAD src0_sel:DWORD src1_sel:WORD_1
	v_cndmask_b32_e32 v187, v187, v190, vcc
	v_cndmask_b32_e32 v188, v188, v189, vcc
	v_mov_b32_e32 v189, 0x3b800000
	v_lshlrev_b32_e32 v187, 20, v187
	v_lshlrev_b32_e32 v73, 31, v73
	v_lshl_add_u32 v188, v188, 23, v189
	v_or3_b32 v187, v73, v188, v187
.LBB8_470:
	s_or_b64 exec, exec, s[2:3]
	v_mov_b32_e32 v73, 8
	v_lshrrev_b16_sdwa v73, v73, v66 dst_sel:DWORD dst_unused:UNUSED_PAD src0_sel:DWORD src1_sel:WORD_1
	s_movk_i32 s0, 0x7f
	v_cmp_lt_i16_e32 vcc, s0, v73
	s_mov_b64 s[0:1], 0
                                        ; implicit-def: $sgpr7
	s_and_saveexec_b64 s[2:3], vcc
	s_xor_b64 s[2:3], exec, s[2:3]
	s_cbranch_execnz .LBB8_983
; %bb.471:
	s_or_saveexec_b64 s[2:3], s[2:3]
	v_mov_b32_e32 v188, s7
	s_xor_b64 exec, exec, s[2:3]
	s_cbranch_execnz .LBB8_986
.LBB8_472:
	s_or_b64 exec, exec, s[2:3]
	s_and_saveexec_b64 s[2:3], s[0:1]
	s_cbranch_execz .LBB8_474
.LBB8_473:
	v_mov_b32_e32 v73, 8
	v_lshrrev_b16_sdwa v73, v73, v66 dst_sel:DWORD dst_unused:UNUSED_PAD src0_sel:DWORD src1_sel:WORD_1
	v_and_b32_e32 v73, 7, v73
	v_mov_b32_e32 v188, 15
	v_mov_b32_e32 v189, 11
	v_lshrrev_b16_sdwa v188, v188, v66 dst_sel:DWORD dst_unused:UNUSED_PAD src0_sel:DWORD src1_sel:WORD_1
	v_lshrrev_b16_sdwa v66, v189, v66 dst_sel:DWORD dst_unused:UNUSED_PAD src0_sel:DWORD src1_sel:WORD_1
	v_ffbh_u32_e32 v189, v73
	v_min_u32_e32 v189, 32, v189
	v_subrev_u32_e32 v190, 28, v189
	v_and_b32_e32 v66, 15, v66
	v_lshlrev_b32_e32 v190, v190, v73
	v_sub_u32_e32 v189, 29, v189
	v_and_b32_e32 v190, 7, v190
	v_cmp_eq_u16_e32 vcc, 0, v66
	v_cndmask_b32_e32 v73, v73, v190, vcc
	v_cndmask_b32_e32 v66, v66, v189, vcc
	v_mov_b32_e32 v189, 0x3b800000
	v_lshlrev_b32_e32 v73, 20, v73
	v_lshlrev_b32_e32 v188, 31, v188
	v_lshl_add_u32 v66, v66, 23, v189
	v_or3_b32 v188, v188, v66, v73
.LBB8_474:
	s_or_b64 exec, exec, s[2:3]
	s_movk_i32 s0, 0x7f
	v_cmp_gt_i16_sdwa s[2:3], v67, s0 src0_sel:BYTE_0 src1_sel:DWORD
	s_mov_b64 s[0:1], 0
                                        ; implicit-def: $sgpr7
	s_and_saveexec_b64 s[4:5], s[2:3]
	s_xor_b64 s[2:3], exec, s[4:5]
	s_cbranch_execnz .LBB8_987
; %bb.475:
	s_or_saveexec_b64 s[2:3], s[2:3]
	v_mov_b32_e32 v189, s7
	s_xor_b64 exec, exec, s[2:3]
	s_cbranch_execnz .LBB8_990
.LBB8_476:
	s_or_b64 exec, exec, s[2:3]
	s_and_saveexec_b64 s[2:3], s[0:1]
	s_cbranch_execz .LBB8_478
.LBB8_477:
	v_and_b32_e32 v66, 7, v67
	v_ffbh_u32_e32 v190, v66
	v_min_u32_e32 v190, 32, v190
	v_lshrrev_b16_e32 v189, 3, v67
	v_subrev_u32_e32 v191, 28, v190
	v_and_b32_e32 v189, 15, v189
	v_lshlrev_b32_e32 v191, v191, v66
	v_sub_u32_e32 v190, 29, v190
	v_and_b32_e32 v191, 7, v191
	v_cmp_eq_u16_e32 vcc, 0, v189
	v_lshrrev_b16_e32 v73, 7, v67
	v_cndmask_b32_e32 v66, v66, v191, vcc
	v_cndmask_b32_e32 v189, v189, v190, vcc
	v_mov_b32_e32 v190, 0x3b800000
	v_lshlrev_b32_e32 v66, 20, v66
	v_lshlrev_b32_e32 v73, 31, v73
	v_lshl_add_u32 v189, v189, 23, v190
	v_or3_b32 v189, v73, v189, v66
.LBB8_478:
	s_or_b64 exec, exec, s[2:3]
	s_movk_i32 s0, 0x7f
	v_cmp_gt_i16_sdwa s[2:3], v67, s0 src0_sel:BYTE_1 src1_sel:DWORD
	s_mov_b64 s[0:1], 0
                                        ; implicit-def: $sgpr7
	s_and_saveexec_b64 s[4:5], s[2:3]
	s_xor_b64 s[2:3], exec, s[4:5]
	s_cbranch_execnz .LBB8_991
; %bb.479:
	s_or_saveexec_b64 s[2:3], s[2:3]
	v_mov_b32_e32 v190, s7
	s_xor_b64 exec, exec, s[2:3]
	s_cbranch_execnz .LBB8_994
.LBB8_480:
	s_or_b64 exec, exec, s[2:3]
	s_and_saveexec_b64 s[2:3], s[0:1]
	s_cbranch_execz .LBB8_482
.LBB8_481:
	v_mov_b32_e32 v66, 7
	v_and_b32_sdwa v66, v67, v66 dst_sel:DWORD dst_unused:UNUSED_PAD src0_sel:BYTE_1 src1_sel:DWORD
	v_ffbh_u32_e32 v191, v66
	v_min_u32_e32 v191, 32, v191
	v_lshrrev_b16_e32 v190, 11, v67
	v_subrev_u32_e32 v192, 28, v191
	v_and_b32_e32 v190, 15, v190
	v_lshlrev_b32_e32 v192, v192, v66
	v_sub_u32_e32 v191, 29, v191
	v_and_b32_e32 v192, 7, v192
	v_cmp_eq_u16_e32 vcc, 0, v190
	v_lshrrev_b16_e32 v73, 15, v67
	v_cndmask_b32_e32 v66, v66, v192, vcc
	v_cndmask_b32_e32 v190, v190, v191, vcc
	v_mov_b32_e32 v191, 0x3b800000
	v_lshlrev_b32_e32 v66, 20, v66
	v_lshlrev_b32_e32 v73, 31, v73
	v_lshl_add_u32 v190, v190, 23, v191
	v_or3_b32 v190, v73, v190, v66
.LBB8_482:
	s_or_b64 exec, exec, s[2:3]
	s_movk_i32 s0, 0xff
	v_and_b32_sdwa v66, v67, s0 dst_sel:DWORD dst_unused:UNUSED_PAD src0_sel:WORD_1 src1_sel:DWORD
	s_movk_i32 s0, 0x7f
	v_cmp_lt_i16_e32 vcc, s0, v66
	s_mov_b64 s[0:1], 0
                                        ; implicit-def: $sgpr7
	s_and_saveexec_b64 s[2:3], vcc
	s_xor_b64 s[2:3], exec, s[2:3]
	s_cbranch_execnz .LBB8_995
; %bb.483:
	s_or_saveexec_b64 s[2:3], s[2:3]
	v_mov_b32_e32 v191, s7
	s_xor_b64 exec, exec, s[2:3]
	s_cbranch_execnz .LBB8_998
.LBB8_484:
	s_or_b64 exec, exec, s[2:3]
	s_and_saveexec_b64 s[2:3], s[0:1]
	s_cbranch_execz .LBB8_486
.LBB8_485:
	v_mov_b32_e32 v66, 7
	v_and_b32_sdwa v73, v67, v66 dst_sel:DWORD dst_unused:UNUSED_PAD src0_sel:WORD_1 src1_sel:DWORD
	v_ffbh_u32_e32 v192, v73
	v_mov_b32_e32 v191, 3
	v_min_u32_e32 v192, 32, v192
	v_lshrrev_b16_sdwa v191, v191, v67 dst_sel:DWORD dst_unused:UNUSED_PAD src0_sel:DWORD src1_sel:WORD_1
	v_subrev_u32_e32 v193, 28, v192
	v_and_b32_e32 v191, 15, v191
	v_lshlrev_b32_e32 v193, v193, v73
	v_sub_u32_e32 v192, 29, v192
	v_and_b32_e32 v193, 7, v193
	v_cmp_eq_u16_e32 vcc, 0, v191
	v_lshrrev_b16_sdwa v66, v66, v67 dst_sel:DWORD dst_unused:UNUSED_PAD src0_sel:DWORD src1_sel:WORD_1
	v_cndmask_b32_e32 v73, v73, v193, vcc
	v_cndmask_b32_e32 v191, v191, v192, vcc
	v_mov_b32_e32 v192, 0x3b800000
	v_lshlrev_b32_e32 v73, 20, v73
	v_lshlrev_b32_e32 v66, 31, v66
	v_lshl_add_u32 v191, v191, 23, v192
	v_or3_b32 v191, v66, v191, v73
.LBB8_486:
	s_or_b64 exec, exec, s[2:3]
	v_mov_b32_e32 v66, 8
	v_lshrrev_b16_sdwa v66, v66, v67 dst_sel:DWORD dst_unused:UNUSED_PAD src0_sel:DWORD src1_sel:WORD_1
	s_movk_i32 s0, 0x7f
	v_cmp_lt_i16_e32 vcc, s0, v66
	s_mov_b64 s[0:1], 0
                                        ; implicit-def: $sgpr7
	s_and_saveexec_b64 s[2:3], vcc
	s_xor_b64 s[2:3], exec, s[2:3]
	s_cbranch_execnz .LBB8_999
; %bb.487:
	s_or_saveexec_b64 s[2:3], s[2:3]
	v_mov_b32_e32 v192, s7
	s_xor_b64 exec, exec, s[2:3]
	s_cbranch_execnz .LBB8_1002
.LBB8_488:
	s_or_b64 exec, exec, s[2:3]
	s_and_saveexec_b64 s[2:3], s[0:1]
	s_cbranch_execz .LBB8_490
.LBB8_489:
	v_mov_b32_e32 v66, 8
	v_lshrrev_b16_sdwa v66, v66, v67 dst_sel:DWORD dst_unused:UNUSED_PAD src0_sel:DWORD src1_sel:WORD_1
	v_and_b32_e32 v66, 7, v66
	v_mov_b32_e32 v73, 15
	v_mov_b32_e32 v192, 11
	v_lshrrev_b16_sdwa v73, v73, v67 dst_sel:DWORD dst_unused:UNUSED_PAD src0_sel:DWORD src1_sel:WORD_1
	v_lshrrev_b16_sdwa v67, v192, v67 dst_sel:DWORD dst_unused:UNUSED_PAD src0_sel:DWORD src1_sel:WORD_1
	v_ffbh_u32_e32 v192, v66
	v_min_u32_e32 v192, 32, v192
	v_subrev_u32_e32 v193, 28, v192
	v_and_b32_e32 v67, 15, v67
	v_lshlrev_b32_e32 v193, v193, v66
	v_sub_u32_e32 v192, 29, v192
	v_and_b32_e32 v193, 7, v193
	v_cmp_eq_u16_e32 vcc, 0, v67
	v_cndmask_b32_e32 v66, v66, v193, vcc
	v_cndmask_b32_e32 v67, v67, v192, vcc
	v_mov_b32_e32 v192, 0x3b800000
	v_lshlrev_b32_e32 v66, 20, v66
	v_lshlrev_b32_e32 v73, 31, v73
	v_lshl_add_u32 v67, v67, 23, v192
	v_or3_b32 v192, v73, v67, v66
.LBB8_490:
	s_or_b64 exec, exec, s[2:3]
	s_movk_i32 s0, 0x7f
	v_cmp_gt_i16_sdwa s[2:3], v68, s0 src0_sel:BYTE_0 src1_sel:DWORD
	s_mov_b64 s[0:1], 0
                                        ; implicit-def: $sgpr7
	s_and_saveexec_b64 s[4:5], s[2:3]
	s_xor_b64 s[2:3], exec, s[4:5]
	s_cbranch_execnz .LBB8_1003
; %bb.491:
	s_or_saveexec_b64 s[2:3], s[2:3]
	v_mov_b32_e32 v193, s7
	s_xor_b64 exec, exec, s[2:3]
	s_cbranch_execnz .LBB8_1006
.LBB8_492:
	s_or_b64 exec, exec, s[2:3]
	s_and_saveexec_b64 s[2:3], s[0:1]
	s_cbranch_execz .LBB8_494
.LBB8_493:
	v_and_b32_e32 v66, 7, v68
	v_ffbh_u32_e32 v193, v66
	v_min_u32_e32 v193, 32, v193
	v_lshrrev_b16_e32 v73, 3, v68
	v_subrev_u32_e32 v194, 28, v193
	v_and_b32_e32 v73, 15, v73
	v_lshlrev_b32_e32 v194, v194, v66
	v_sub_u32_e32 v193, 29, v193
	v_and_b32_e32 v194, 7, v194
	v_cmp_eq_u16_e32 vcc, 0, v73
	v_lshrrev_b16_e32 v67, 7, v68
	v_cndmask_b32_e32 v66, v66, v194, vcc
	v_cndmask_b32_e32 v73, v73, v193, vcc
	v_mov_b32_e32 v193, 0x3b800000
	v_lshlrev_b32_e32 v66, 20, v66
	v_lshlrev_b32_e32 v67, 31, v67
	v_lshl_add_u32 v73, v73, 23, v193
	v_or3_b32 v193, v67, v73, v66
.LBB8_494:
	s_or_b64 exec, exec, s[2:3]
	s_movk_i32 s0, 0x7f
	v_cmp_gt_i16_sdwa s[2:3], v68, s0 src0_sel:BYTE_1 src1_sel:DWORD
	s_mov_b64 s[0:1], 0
                                        ; implicit-def: $sgpr7
	s_and_saveexec_b64 s[4:5], s[2:3]
	s_xor_b64 s[2:3], exec, s[4:5]
	s_cbranch_execnz .LBB8_1007
; %bb.495:
	s_or_saveexec_b64 s[2:3], s[2:3]
	v_mov_b32_e32 v194, s7
	s_xor_b64 exec, exec, s[2:3]
	s_cbranch_execnz .LBB8_1010
.LBB8_496:
	s_or_b64 exec, exec, s[2:3]
	s_and_saveexec_b64 s[2:3], s[0:1]
	s_cbranch_execz .LBB8_498
.LBB8_497:
	v_mov_b32_e32 v66, 7
	v_and_b32_sdwa v66, v68, v66 dst_sel:DWORD dst_unused:UNUSED_PAD src0_sel:BYTE_1 src1_sel:DWORD
	v_ffbh_u32_e32 v194, v66
	v_min_u32_e32 v194, 32, v194
	v_lshrrev_b16_e32 v73, 11, v68
	v_subrev_u32_e32 v195, 28, v194
	v_and_b32_e32 v73, 15, v73
	v_lshlrev_b32_e32 v195, v195, v66
	v_sub_u32_e32 v194, 29, v194
	v_and_b32_e32 v195, 7, v195
	v_cmp_eq_u16_e32 vcc, 0, v73
	v_lshrrev_b16_e32 v67, 15, v68
	v_cndmask_b32_e32 v66, v66, v195, vcc
	v_cndmask_b32_e32 v73, v73, v194, vcc
	v_mov_b32_e32 v194, 0x3b800000
	v_lshlrev_b32_e32 v66, 20, v66
	v_lshlrev_b32_e32 v67, 31, v67
	v_lshl_add_u32 v73, v73, 23, v194
	v_or3_b32 v194, v67, v73, v66
.LBB8_498:
	s_or_b64 exec, exec, s[2:3]
	s_movk_i32 s0, 0xff
	v_and_b32_sdwa v66, v68, s0 dst_sel:DWORD dst_unused:UNUSED_PAD src0_sel:WORD_1 src1_sel:DWORD
	s_movk_i32 s0, 0x7f
	v_cmp_lt_i16_e32 vcc, s0, v66
	s_mov_b64 s[0:1], 0
                                        ; implicit-def: $sgpr7
	s_and_saveexec_b64 s[2:3], vcc
	s_xor_b64 s[2:3], exec, s[2:3]
	s_cbranch_execnz .LBB8_1011
; %bb.499:
	s_or_saveexec_b64 s[2:3], s[2:3]
	v_mov_b32_e32 v195, s7
	s_xor_b64 exec, exec, s[2:3]
	s_cbranch_execnz .LBB8_1014
.LBB8_500:
	s_or_b64 exec, exec, s[2:3]
	s_and_saveexec_b64 s[2:3], s[0:1]
	s_cbranch_execz .LBB8_502
.LBB8_501:
	v_mov_b32_e32 v66, 7
	v_and_b32_sdwa v67, v68, v66 dst_sel:DWORD dst_unused:UNUSED_PAD src0_sel:WORD_1 src1_sel:DWORD
	v_ffbh_u32_e32 v195, v67
	v_mov_b32_e32 v73, 3
	v_min_u32_e32 v195, 32, v195
	v_lshrrev_b16_sdwa v73, v73, v68 dst_sel:DWORD dst_unused:UNUSED_PAD src0_sel:DWORD src1_sel:WORD_1
	v_subrev_u32_e32 v196, 28, v195
	v_and_b32_e32 v73, 15, v73
	v_lshlrev_b32_e32 v196, v196, v67
	v_sub_u32_e32 v195, 29, v195
	v_and_b32_e32 v196, 7, v196
	v_cmp_eq_u16_e32 vcc, 0, v73
	v_lshrrev_b16_sdwa v66, v66, v68 dst_sel:DWORD dst_unused:UNUSED_PAD src0_sel:DWORD src1_sel:WORD_1
	v_cndmask_b32_e32 v67, v67, v196, vcc
	v_cndmask_b32_e32 v73, v73, v195, vcc
	v_mov_b32_e32 v195, 0x3b800000
	v_lshlrev_b32_e32 v67, 20, v67
	v_lshlrev_b32_e32 v66, 31, v66
	v_lshl_add_u32 v73, v73, 23, v195
	v_or3_b32 v195, v66, v73, v67
.LBB8_502:
	s_or_b64 exec, exec, s[2:3]
	v_mov_b32_e32 v66, 8
	v_lshrrev_b16_sdwa v66, v66, v68 dst_sel:DWORD dst_unused:UNUSED_PAD src0_sel:DWORD src1_sel:WORD_1
	s_movk_i32 s0, 0x7f
	v_cmp_lt_i16_e32 vcc, s0, v66
	s_mov_b64 s[0:1], 0
                                        ; implicit-def: $sgpr7
	s_and_saveexec_b64 s[2:3], vcc
	s_xor_b64 s[2:3], exec, s[2:3]
	s_cbranch_execnz .LBB8_1015
; %bb.503:
	s_or_saveexec_b64 s[2:3], s[2:3]
	v_mov_b32_e32 v196, s7
	s_xor_b64 exec, exec, s[2:3]
	s_cbranch_execnz .LBB8_1018
.LBB8_504:
	s_or_b64 exec, exec, s[2:3]
	s_and_saveexec_b64 s[2:3], s[0:1]
	s_cbranch_execz .LBB8_506
.LBB8_505:
	v_mov_b32_e32 v66, 8
	v_lshrrev_b16_sdwa v66, v66, v68 dst_sel:DWORD dst_unused:UNUSED_PAD src0_sel:DWORD src1_sel:WORD_1
	v_and_b32_e32 v66, 7, v66
	v_mov_b32_e32 v67, 15
	v_mov_b32_e32 v73, 11
	v_lshrrev_b16_sdwa v67, v67, v68 dst_sel:DWORD dst_unused:UNUSED_PAD src0_sel:DWORD src1_sel:WORD_1
	v_lshrrev_b16_sdwa v68, v73, v68 dst_sel:DWORD dst_unused:UNUSED_PAD src0_sel:DWORD src1_sel:WORD_1
	v_ffbh_u32_e32 v73, v66
	v_min_u32_e32 v73, 32, v73
	v_subrev_u32_e32 v196, 28, v73
	v_and_b32_e32 v68, 15, v68
	v_lshlrev_b32_e32 v196, v196, v66
	v_sub_u32_e32 v73, 29, v73
	v_and_b32_e32 v196, 7, v196
	v_cmp_eq_u16_e32 vcc, 0, v68
	v_cndmask_b32_e32 v66, v66, v196, vcc
	v_cndmask_b32_e32 v68, v68, v73, vcc
	v_mov_b32_e32 v73, 0x3b800000
	v_lshlrev_b32_e32 v66, 20, v66
	v_lshlrev_b32_e32 v67, 31, v67
	v_lshl_add_u32 v68, v68, 23, v73
	v_or3_b32 v196, v67, v68, v66
.LBB8_506:
	s_or_b64 exec, exec, s[2:3]
	s_movk_i32 s0, 0x7f
	v_cmp_gt_i16_sdwa s[2:3], v69, s0 src0_sel:BYTE_0 src1_sel:DWORD
	s_mov_b64 s[0:1], 0
                                        ; implicit-def: $sgpr7
	s_and_saveexec_b64 s[4:5], s[2:3]
	s_xor_b64 s[2:3], exec, s[4:5]
	s_cbranch_execnz .LBB8_1019
; %bb.507:
	s_or_saveexec_b64 s[2:3], s[2:3]
	v_mov_b32_e32 v197, s7
	s_xor_b64 exec, exec, s[2:3]
	s_cbranch_execnz .LBB8_1022
.LBB8_508:
	s_or_b64 exec, exec, s[2:3]
	s_and_saveexec_b64 s[2:3], s[0:1]
	s_cbranch_execz .LBB8_510
.LBB8_509:
	v_and_b32_e32 v66, 7, v69
	v_ffbh_u32_e32 v73, v66
	v_min_u32_e32 v73, 32, v73
	v_lshrrev_b16_e32 v68, 3, v69
	v_subrev_u32_e32 v197, 28, v73
	v_and_b32_e32 v68, 15, v68
	v_lshlrev_b32_e32 v197, v197, v66
	v_sub_u32_e32 v73, 29, v73
	v_and_b32_e32 v197, 7, v197
	v_cmp_eq_u16_e32 vcc, 0, v68
	v_lshrrev_b16_e32 v67, 7, v69
	v_cndmask_b32_e32 v66, v66, v197, vcc
	v_cndmask_b32_e32 v68, v68, v73, vcc
	v_mov_b32_e32 v73, 0x3b800000
	v_lshlrev_b32_e32 v66, 20, v66
	v_lshlrev_b32_e32 v67, 31, v67
	v_lshl_add_u32 v68, v68, 23, v73
	v_or3_b32 v197, v67, v68, v66
.LBB8_510:
	s_or_b64 exec, exec, s[2:3]
	s_movk_i32 s0, 0x7f
	v_cmp_gt_i16_sdwa s[2:3], v69, s0 src0_sel:BYTE_1 src1_sel:DWORD
	s_mov_b64 s[0:1], 0
                                        ; implicit-def: $sgpr7
	s_and_saveexec_b64 s[4:5], s[2:3]
	s_xor_b64 s[2:3], exec, s[4:5]
	s_cbranch_execnz .LBB8_1023
; %bb.511:
	s_or_saveexec_b64 s[2:3], s[2:3]
	v_mov_b32_e32 v198, s7
	s_xor_b64 exec, exec, s[2:3]
	s_cbranch_execnz .LBB8_1026
.LBB8_512:
	s_or_b64 exec, exec, s[2:3]
	s_and_saveexec_b64 s[2:3], s[0:1]
	s_cbranch_execz .LBB8_514
.LBB8_513:
	v_mov_b32_e32 v66, 7
	v_and_b32_sdwa v66, v69, v66 dst_sel:DWORD dst_unused:UNUSED_PAD src0_sel:BYTE_1 src1_sel:DWORD
	v_ffbh_u32_e32 v73, v66
	v_min_u32_e32 v73, 32, v73
	v_lshrrev_b16_e32 v68, 11, v69
	v_subrev_u32_e32 v198, 28, v73
	v_and_b32_e32 v68, 15, v68
	v_lshlrev_b32_e32 v198, v198, v66
	v_sub_u32_e32 v73, 29, v73
	v_and_b32_e32 v198, 7, v198
	v_cmp_eq_u16_e32 vcc, 0, v68
	v_lshrrev_b16_e32 v67, 15, v69
	v_cndmask_b32_e32 v66, v66, v198, vcc
	v_cndmask_b32_e32 v68, v68, v73, vcc
	v_mov_b32_e32 v73, 0x3b800000
	v_lshlrev_b32_e32 v66, 20, v66
	v_lshlrev_b32_e32 v67, 31, v67
	v_lshl_add_u32 v68, v68, 23, v73
	v_or3_b32 v198, v67, v68, v66
.LBB8_514:
	s_or_b64 exec, exec, s[2:3]
	s_movk_i32 s0, 0xff
	v_and_b32_sdwa v66, v69, s0 dst_sel:DWORD dst_unused:UNUSED_PAD src0_sel:WORD_1 src1_sel:DWORD
	s_movk_i32 s0, 0x7f
	v_cmp_lt_i16_e32 vcc, s0, v66
	s_mov_b64 s[0:1], 0
                                        ; implicit-def: $sgpr7
	s_and_saveexec_b64 s[2:3], vcc
	s_xor_b64 s[2:3], exec, s[2:3]
	s_cbranch_execnz .LBB8_1027
; %bb.515:
	s_or_saveexec_b64 s[2:3], s[2:3]
	v_mov_b32_e32 v199, s7
	s_xor_b64 exec, exec, s[2:3]
	s_cbranch_execnz .LBB8_1030
.LBB8_516:
	s_or_b64 exec, exec, s[2:3]
	s_and_saveexec_b64 s[2:3], s[0:1]
	s_cbranch_execz .LBB8_518
.LBB8_517:
	v_mov_b32_e32 v66, 7
	v_and_b32_sdwa v67, v69, v66 dst_sel:DWORD dst_unused:UNUSED_PAD src0_sel:WORD_1 src1_sel:DWORD
	v_ffbh_u32_e32 v73, v67
	v_mov_b32_e32 v68, 3
	v_min_u32_e32 v73, 32, v73
	v_lshrrev_b16_sdwa v68, v68, v69 dst_sel:DWORD dst_unused:UNUSED_PAD src0_sel:DWORD src1_sel:WORD_1
	v_subrev_u32_e32 v199, 28, v73
	v_and_b32_e32 v68, 15, v68
	v_lshlrev_b32_e32 v199, v199, v67
	v_sub_u32_e32 v73, 29, v73
	v_and_b32_e32 v199, 7, v199
	v_cmp_eq_u16_e32 vcc, 0, v68
	v_lshrrev_b16_sdwa v66, v66, v69 dst_sel:DWORD dst_unused:UNUSED_PAD src0_sel:DWORD src1_sel:WORD_1
	v_cndmask_b32_e32 v67, v67, v199, vcc
	v_cndmask_b32_e32 v68, v68, v73, vcc
	v_mov_b32_e32 v73, 0x3b800000
	v_lshlrev_b32_e32 v67, 20, v67
	v_lshlrev_b32_e32 v66, 31, v66
	v_lshl_add_u32 v68, v68, 23, v73
	v_or3_b32 v199, v66, v68, v67
.LBB8_518:
	s_or_b64 exec, exec, s[2:3]
	v_mov_b32_e32 v66, 8
	v_lshrrev_b16_sdwa v66, v66, v69 dst_sel:DWORD dst_unused:UNUSED_PAD src0_sel:DWORD src1_sel:WORD_1
	s_movk_i32 s0, 0x7f
	v_cmp_lt_i16_e32 vcc, s0, v66
	s_mov_b64 s[0:1], 0
                                        ; implicit-def: $sgpr7
	s_and_saveexec_b64 s[2:3], vcc
	s_xor_b64 s[2:3], exec, s[2:3]
	s_cbranch_execnz .LBB8_1031
; %bb.519:
	s_or_saveexec_b64 s[2:3], s[2:3]
	v_mov_b32_e32 v200, s7
	s_xor_b64 exec, exec, s[2:3]
	s_cbranch_execnz .LBB8_1034
.LBB8_520:
	s_or_b64 exec, exec, s[2:3]
	s_and_saveexec_b64 s[2:3], s[0:1]
	s_cbranch_execz .LBB8_522
.LBB8_521:
	v_mov_b32_e32 v66, 8
	v_lshrrev_b16_sdwa v66, v66, v69 dst_sel:DWORD dst_unused:UNUSED_PAD src0_sel:DWORD src1_sel:WORD_1
	v_and_b32_e32 v66, 7, v66
	v_mov_b32_e32 v67, 15
	v_mov_b32_e32 v68, 11
	v_lshrrev_b16_sdwa v67, v67, v69 dst_sel:DWORD dst_unused:UNUSED_PAD src0_sel:DWORD src1_sel:WORD_1
	v_lshrrev_b16_sdwa v68, v68, v69 dst_sel:DWORD dst_unused:UNUSED_PAD src0_sel:DWORD src1_sel:WORD_1
	v_ffbh_u32_e32 v69, v66
	v_min_u32_e32 v69, 32, v69
	v_subrev_u32_e32 v73, 28, v69
	v_and_b32_e32 v68, 15, v68
	v_lshlrev_b32_e32 v73, v73, v66
	v_sub_u32_e32 v69, 29, v69
	v_and_b32_e32 v73, 7, v73
	v_cmp_eq_u16_e32 vcc, 0, v68
	v_cndmask_b32_e32 v66, v66, v73, vcc
	v_cndmask_b32_e32 v68, v68, v69, vcc
	v_mov_b32_e32 v69, 0x3b800000
	v_lshlrev_b32_e32 v66, 20, v66
	v_lshlrev_b32_e32 v67, 31, v67
	v_lshl_add_u32 v68, v68, 23, v69
	v_or3_b32 v200, v67, v68, v66
.LBB8_522:
	s_or_b64 exec, exec, s[2:3]
	s_ashr_i32 s23, s22, 31
	s_lshl_b64 s[0:1], s[22:23], 1
	s_add_u32 s4, s20, s0
	s_mul_i32 s25, s25, s13
	s_mul_hi_u32 s2, s24, s13
	s_addc_u32 s5, s21, s1
	s_add_i32 s2, s2, s25
	v_cvt_pkrtz_f16_f32 v83, v83, v184
	v_cvt_pkrtz_f16_f32 v82, v72, v82
	;; [unrolled: 1-line block ×64, first 2 shown]
	; sched_barrier mask(0x00000000)
	; wave barrier
	; sched_barrier mask(0x00000000)
	v_mfma_f32_16x16x16f16 v[86:89], v[54:55], v[102:103], 0
	v_mfma_f32_16x16x16f16 v[86:89], v[56:57], v[94:95], v[86:89]
	;; [unrolled: 1-line block ×4, first 2 shown]
	; sched_barrier mask(0x00000000)
	s_setprio 1
	; sched_barrier mask(0x00000000)
	v_mfma_f32_16x16x16f16 v[90:93], v[54:55], v[154:155], 0
	v_mfma_f32_16x16x16f16 v[54:57], v[56:57], v[156:157], v[90:93]
	v_mfma_f32_16x16x16f16 v[54:57], v[50:51], v[160:161], v[54:57]
	v_mfma_f32_16x16x16f16 v[50:53], v[52:53], v[162:163], v[54:57]
	s_waitcnt lgkmcnt(7)
	v_mfma_f32_16x16x16f16 v[54:57], v[62:63], v[102:103], 0
	v_mfma_f32_16x16x16f16 v[90:93], v[62:63], v[154:155], 0
	v_mfma_f32_16x16x16f16 v[54:57], v[64:65], v[94:95], v[54:57]
	v_mfma_f32_16x16x16f16 v[62:65], v[64:65], v[156:157], v[90:93]
	s_waitcnt lgkmcnt(6)
	v_mfma_f32_16x16x16f16 v[54:57], v[58:59], v[108:109], v[54:57]
	v_mfma_f32_16x16x16f16 v[62:65], v[58:59], v[160:161], v[62:65]
	v_mfma_f32_16x16x16f16 v[54:57], v[60:61], v[96:97], v[54:57]
	v_mfma_f32_16x16x16f16 v[58:61], v[60:61], v[162:163], v[62:65]
	v_mfma_f32_16x16x16f16 v[62:65], v[38:39], v[114:115], v[86:89]
	v_mfma_f32_16x16x16f16 v[50:53], v[38:39], v[166:167], v[50:53]
	v_mfma_f32_16x16x16f16 v[62:65], v[40:41], v[116:117], v[62:65]
	v_mfma_f32_16x16x16f16 v[38:41], v[40:41], v[168:169], v[50:53]
	v_mfma_f32_16x16x16f16 v[62:65], v[34:35], v[120:121], v[62:65]
	v_mfma_f32_16x16x16f16 v[38:41], v[34:35], v[172:173], v[38:41]
	v_mfma_f32_16x16x16f16 v[62:65], v[36:37], v[122:123], v[62:65]
	v_mfma_f32_16x16x16f16 v[34:37], v[36:37], v[174:175], v[38:41]
	s_waitcnt lgkmcnt(5)
	v_mfma_f32_16x16x16f16 v[38:41], v[46:47], v[114:115], v[54:57]
	v_mfma_f32_16x16x16f16 v[50:53], v[46:47], v[166:167], v[58:61]
	v_mfma_f32_16x16x16f16 v[38:41], v[48:49], v[116:117], v[38:41]
	v_mfma_f32_16x16x16f16 v[46:49], v[48:49], v[168:169], v[50:53]
	s_waitcnt lgkmcnt(4)
	v_mfma_f32_16x16x16f16 v[38:41], v[42:43], v[120:121], v[38:41]
	v_mfma_f32_16x16x16f16 v[46:49], v[42:43], v[172:173], v[46:49]
	v_mfma_f32_16x16x16f16 v[38:41], v[44:45], v[122:123], v[38:41]
	v_mfma_f32_16x16x16f16 v[42:45], v[44:45], v[174:175], v[46:49]
	v_mfma_f32_16x16x16f16 v[46:49], v[22:23], v[126:127], v[62:65]
	v_mfma_f32_16x16x16f16 v[34:37], v[22:23], v[178:179], v[34:37]
	v_mfma_f32_16x16x16f16 v[46:49], v[24:25], v[128:129], v[46:49]
	v_mfma_f32_16x16x16f16 v[22:25], v[24:25], v[180:181], v[34:37]
	;; [unrolled: 18-line block ×3, first 2 shown]
	v_mfma_f32_16x16x16f16 v[30:33], v[2:3], v[68:69], v[30:33]
	v_mfma_f32_16x16x16f16 v[6:9], v[2:3], v[80:81], v[6:9]
	;; [unrolled: 1-line block ×4, first 2 shown]
	s_waitcnt lgkmcnt(1)
	v_mfma_f32_16x16x16f16 v[6:9], v[14:15], v[72:73], v[22:25]
	v_mfma_f32_16x16x16f16 v[6:9], v[16:17], v[70:71], v[6:9]
	s_waitcnt lgkmcnt(0)
	v_mfma_f32_16x16x16f16 v[6:9], v[10:11], v[68:69], v[6:9]
	v_mfma_f32_16x16x16f16 v[6:9], v[12:13], v[66:67], v[6:9]
	; sched_barrier mask(0x00000000)
	s_waitcnt lgkmcnt(0)
	; wave barrier
	; sched_barrier mask(0x00000000)
	v_mfma_f32_16x16x16f16 v[18:21], v[14:15], v[76:77], v[26:29]
	v_mfma_f32_16x16x16f16 v[14:17], v[16:17], v[78:79], v[18:21]
	;; [unrolled: 1-line block ×4, first 2 shown]
	; sched_barrier mask(0x00000000)
	s_setprio 0
	; sched_barrier mask(0x00000000)
	s_nop 7
	s_nop 0
	v_lshrrev_b32_e32 v16, 2, v0
	v_and_b32_e32 v17, 12, v98
	v_or_b32_e32 v1, v99, v1
	v_or_b32_e32 v0, s6, v17
	v_lshl_or_b32 v18, s15, 5, v16
	v_mad_u64_u32 v[14:15], s[0:1], v18, s13, v[0:1]
	v_cvt_f16_f32_e32 v15, v30
	v_lshlrev_b32_e32 v19, 1, v1
	v_cvt_f16_f32_e32 v1, v31
	v_cvt_f16_f32_e32 v20, v32
	;; [unrolled: 1-line block ×3, first 2 shown]
	s_waitcnt lgkmcnt(0)
	; wave barrier
	ds_write_b16 v19, v15
	ds_write_b16 v19, v1 offset:32
	ds_write_b16 v19, v20 offset:64
	;; [unrolled: 1-line block ×3, first 2 shown]
	v_lshlrev_b32_e32 v1, 1, v17
	v_lshl_or_b32 v15, v16, 5, v1
	s_waitcnt lgkmcnt(0)
	; wave barrier
	ds_read_b64 v[16:17], v15
	v_cmp_gt_i32_e32 vcc, s9, v0
	v_cmp_gt_i32_e64 s[0:1], s8, v18
	s_add_i32 s2, s9, s2
	s_lshl_b32 s6, s2, 1
	v_bfrev_b32_e32 v20, 1
	s_and_b64 s[2:3], s[0:1], vcc
	v_cndmask_b32_e64 v1, v20, 0, s[2:3]
	s_mov_b32 s7, 0x20000
	v_lshl_add_u32 v1, v14, 1, v1
	s_waitcnt lgkmcnt(0)
	buffer_store_dwordx2 v[16:17], v1, s[4:7], 0 offen
	v_or_b32_e32 v16, 16, v0
	v_cvt_f16_f32_e32 v0, v2
	v_cvt_f16_f32_e32 v1, v3
	v_cvt_f16_f32_e32 v2, v4
	v_cvt_f16_f32_e32 v3, v5
	s_waitcnt lgkmcnt(0)
	; wave barrier
	ds_write_b16 v19, v0
	ds_write_b16 v19, v1 offset:32
	ds_write_b16 v19, v2 offset:64
	;; [unrolled: 1-line block ×3, first 2 shown]
	s_waitcnt lgkmcnt(0)
	; wave barrier
	ds_read_b64 v[0:1], v15
	v_cmp_gt_i32_e64 s[2:3], s9, v16
	s_and_b64 s[0:1], s[0:1], s[2:3]
	v_add_u32_e32 v17, 16, v14
	v_cndmask_b32_e64 v2, v20, 0, s[0:1]
	v_lshl_add_u32 v2, v17, 1, v2
	s_waitcnt lgkmcnt(0)
	buffer_store_dwordx2 v[0:1], v2, s[4:7], 0 offen
	v_cvt_f16_f32_e32 v0, v10
	v_cvt_f16_f32_e32 v1, v11
	v_cvt_f16_f32_e32 v4, v12
	v_cvt_f16_f32_e32 v5, v13
	v_or_b32_e32 v2, 16, v18
	s_waitcnt lgkmcnt(0)
	; wave barrier
	ds_write_b16 v19, v0
	ds_write_b16 v19, v1 offset:32
	ds_write_b16 v19, v4 offset:64
	;; [unrolled: 1-line block ×3, first 2 shown]
	s_waitcnt lgkmcnt(0)
	; wave barrier
	ds_read_b64 v[0:1], v15
	v_cmp_gt_i32_e64 s[0:1], s8, v2
	s_lshl_b32 s9, s13, 4
	s_and_b64 s[2:3], s[0:1], s[2:3]
	v_add_u32_e32 v3, s9, v17
	v_cndmask_b32_e64 v2, v20, 0, s[2:3]
	v_lshl_add_u32 v2, v3, 1, v2
	s_waitcnt lgkmcnt(0)
	buffer_store_dwordx2 v[0:1], v2, s[4:7], 0 offen
	v_cvt_f16_f32_e32 v0, v6
	v_cvt_f16_f32_e32 v1, v7
	;; [unrolled: 1-line block ×4, first 2 shown]
	s_waitcnt lgkmcnt(0)
	; wave barrier
	ds_write_b16 v19, v0
	ds_write_b16 v19, v1 offset:32
	ds_write_b16 v19, v2 offset:64
	;; [unrolled: 1-line block ×3, first 2 shown]
	s_waitcnt lgkmcnt(0)
	; wave barrier
	ds_read_b64 v[0:1], v15
	s_and_b64 s[0:1], vcc, s[0:1]
	v_add_u32_e32 v2, s9, v14
	v_cndmask_b32_e64 v3, v20, 0, s[0:1]
	v_lshl_add_u32 v2, v2, 1, v3
	s_waitcnt lgkmcnt(0)
	buffer_store_dwordx2 v[0:1], v2, s[4:7], 0 offen
	s_endpgm
.LBB8_523:
	s_movk_i32 s0, 0x80
	v_cmp_eq_u16_sdwa s[10:11], v94, s0 src0_sel:BYTE_0 src1_sel:DWORD
	s_mov_b64 s[0:1], -1
                                        ; implicit-def: $sgpr7
	s_and_saveexec_b64 s[4:5], s[10:11]
; %bb.524:
	s_mov_b32 s7, 0x7f800001
	s_xor_b64 s[0:1], exec, -1
; %bb.525:
	s_or_b64 exec, exec, s[4:5]
	s_and_b64 s[0:1], s[0:1], exec
	s_or_saveexec_b64 s[2:3], s[2:3]
	v_mov_b32_e32 v100, s7
	s_xor_b64 exec, exec, s[2:3]
	s_cbranch_execz .LBB8_12
.LBB8_526:
	v_mov_b32_e32 v100, 0
	v_cmp_ne_u16_sdwa s[4:5], v94, v100 src0_sel:BYTE_0 src1_sel:DWORD
	s_andn2_b64 s[0:1], s[0:1], exec
	s_and_b64 s[4:5], s[4:5], exec
	s_or_b64 s[0:1], s[0:1], s[4:5]
	s_or_b64 exec, exec, s[2:3]
	s_and_saveexec_b64 s[2:3], s[0:1]
	s_cbranch_execnz .LBB8_13
	s_branch .LBB8_14
.LBB8_527:
	s_movk_i32 s0, 0x80
	v_cmp_eq_u16_sdwa s[10:11], v94, s0 src0_sel:BYTE_1 src1_sel:DWORD
	s_mov_b64 s[0:1], -1
                                        ; implicit-def: $sgpr7
	s_and_saveexec_b64 s[4:5], s[10:11]
; %bb.528:
	s_mov_b32 s7, 0x7f800001
	s_xor_b64 s[0:1], exec, -1
; %bb.529:
	s_or_b64 exec, exec, s[4:5]
	s_and_b64 s[0:1], s[0:1], exec
	s_or_saveexec_b64 s[2:3], s[2:3]
	v_mov_b32_e32 v101, s7
	s_xor_b64 exec, exec, s[2:3]
	s_cbranch_execz .LBB8_16
.LBB8_530:
	v_mov_b32_e32 v101, 0
	v_cmp_ne_u16_sdwa s[4:5], v94, v101 src0_sel:BYTE_1 src1_sel:DWORD
	s_andn2_b64 s[0:1], s[0:1], exec
	s_and_b64 s[4:5], s[4:5], exec
	s_or_b64 s[0:1], s[0:1], s[4:5]
	s_or_b64 exec, exec, s[2:3]
	s_and_saveexec_b64 s[2:3], s[0:1]
	s_cbranch_execnz .LBB8_17
	s_branch .LBB8_18
.LBB8_531:
	s_movk_i32 s0, 0x80
	v_cmp_eq_u16_e32 vcc, s0, v103
	s_mov_b64 s[0:1], -1
                                        ; implicit-def: $sgpr7
	s_and_saveexec_b64 s[4:5], vcc
; %bb.532:
	s_mov_b32 s7, 0x7f800001
	s_xor_b64 s[0:1], exec, -1
; %bb.533:
	s_or_b64 exec, exec, s[4:5]
	s_and_b64 s[0:1], s[0:1], exec
                                        ; implicit-def: $vgpr103
	s_or_saveexec_b64 s[2:3], s[2:3]
	v_mov_b32_e32 v102, s7
	s_xor_b64 exec, exec, s[2:3]
	s_cbranch_execz .LBB8_20
.LBB8_534:
	v_cmp_ne_u16_e32 vcc, 0, v103
	s_andn2_b64 s[0:1], s[0:1], exec
	s_and_b64 s[4:5], vcc, exec
	v_mov_b32_e32 v102, 0
	s_or_b64 s[0:1], s[0:1], s[4:5]
	s_or_b64 exec, exec, s[2:3]
	s_and_saveexec_b64 s[2:3], s[0:1]
	s_cbranch_execnz .LBB8_21
	s_branch .LBB8_22
.LBB8_535:
	s_movk_i32 s0, 0x80
	v_cmp_eq_u16_e32 vcc, s0, v104
	s_mov_b64 s[0:1], -1
                                        ; implicit-def: $sgpr7
	s_and_saveexec_b64 s[4:5], vcc
; %bb.536:
	s_mov_b32 s7, 0x7f800001
	s_xor_b64 s[0:1], exec, -1
; %bb.537:
	s_or_b64 exec, exec, s[4:5]
	s_and_b64 s[0:1], s[0:1], exec
                                        ; implicit-def: $vgpr104
	s_or_saveexec_b64 s[2:3], s[2:3]
	v_mov_b32_e32 v103, s7
	s_xor_b64 exec, exec, s[2:3]
	s_cbranch_execz .LBB8_24
.LBB8_538:
	v_cmp_ne_u16_e32 vcc, 0, v104
	s_andn2_b64 s[0:1], s[0:1], exec
	s_and_b64 s[4:5], vcc, exec
	v_mov_b32_e32 v103, 0
	s_or_b64 s[0:1], s[0:1], s[4:5]
	s_or_b64 exec, exec, s[2:3]
	s_and_saveexec_b64 s[2:3], s[0:1]
	s_cbranch_execnz .LBB8_25
	s_branch .LBB8_26
.LBB8_539:
	s_movk_i32 s0, 0x80
	v_cmp_eq_u16_sdwa s[10:11], v95, s0 src0_sel:BYTE_0 src1_sel:DWORD
	s_mov_b64 s[0:1], -1
                                        ; implicit-def: $sgpr7
	s_and_saveexec_b64 s[4:5], s[10:11]
; %bb.540:
	s_mov_b32 s7, 0x7f800001
	s_xor_b64 s[0:1], exec, -1
; %bb.541:
	s_or_b64 exec, exec, s[4:5]
	s_and_b64 s[0:1], s[0:1], exec
	s_or_saveexec_b64 s[2:3], s[2:3]
	v_mov_b32_e32 v94, s7
	s_xor_b64 exec, exec, s[2:3]
	s_cbranch_execz .LBB8_28
.LBB8_542:
	v_mov_b32_e32 v94, 0
	v_cmp_ne_u16_sdwa s[4:5], v95, v94 src0_sel:BYTE_0 src1_sel:DWORD
	s_andn2_b64 s[0:1], s[0:1], exec
	s_and_b64 s[4:5], s[4:5], exec
	s_or_b64 s[0:1], s[0:1], s[4:5]
	s_or_b64 exec, exec, s[2:3]
	s_and_saveexec_b64 s[2:3], s[0:1]
	s_cbranch_execnz .LBB8_29
	s_branch .LBB8_30
.LBB8_543:
	s_movk_i32 s0, 0x80
	v_cmp_eq_u16_sdwa s[10:11], v95, s0 src0_sel:BYTE_1 src1_sel:DWORD
	s_mov_b64 s[0:1], -1
                                        ; implicit-def: $sgpr7
	s_and_saveexec_b64 s[4:5], s[10:11]
; %bb.544:
	s_mov_b32 s7, 0x7f800001
	s_xor_b64 s[0:1], exec, -1
; %bb.545:
	s_or_b64 exec, exec, s[4:5]
	s_and_b64 s[0:1], s[0:1], exec
	s_or_saveexec_b64 s[2:3], s[2:3]
	v_mov_b32_e32 v104, s7
	s_xor_b64 exec, exec, s[2:3]
	s_cbranch_execz .LBB8_32
.LBB8_546:
	v_mov_b32_e32 v104, 0
	v_cmp_ne_u16_sdwa s[4:5], v95, v104 src0_sel:BYTE_1 src1_sel:DWORD
	s_andn2_b64 s[0:1], s[0:1], exec
	s_and_b64 s[4:5], s[4:5], exec
	s_or_b64 s[0:1], s[0:1], s[4:5]
	s_or_b64 exec, exec, s[2:3]
	s_and_saveexec_b64 s[2:3], s[0:1]
	s_cbranch_execnz .LBB8_33
	s_branch .LBB8_34
.LBB8_547:
	s_movk_i32 s0, 0x80
	v_cmp_eq_u16_e32 vcc, s0, v106
	s_mov_b64 s[0:1], -1
                                        ; implicit-def: $sgpr7
	s_and_saveexec_b64 s[4:5], vcc
; %bb.548:
	s_mov_b32 s7, 0x7f800001
	s_xor_b64 s[0:1], exec, -1
; %bb.549:
	s_or_b64 exec, exec, s[4:5]
	s_and_b64 s[0:1], s[0:1], exec
                                        ; implicit-def: $vgpr106
	s_or_saveexec_b64 s[2:3], s[2:3]
	v_mov_b32_e32 v105, s7
	s_xor_b64 exec, exec, s[2:3]
	s_cbranch_execz .LBB8_36
.LBB8_550:
	v_cmp_ne_u16_e32 vcc, 0, v106
	s_andn2_b64 s[0:1], s[0:1], exec
	s_and_b64 s[4:5], vcc, exec
	v_mov_b32_e32 v105, 0
	s_or_b64 s[0:1], s[0:1], s[4:5]
	s_or_b64 exec, exec, s[2:3]
	s_and_saveexec_b64 s[2:3], s[0:1]
	s_cbranch_execnz .LBB8_37
	s_branch .LBB8_38
.LBB8_551:
	s_movk_i32 s0, 0x80
	v_cmp_eq_u16_e32 vcc, s0, v107
	s_mov_b64 s[0:1], -1
                                        ; implicit-def: $sgpr7
	s_and_saveexec_b64 s[4:5], vcc
; %bb.552:
	s_mov_b32 s7, 0x7f800001
	s_xor_b64 s[0:1], exec, -1
; %bb.553:
	s_or_b64 exec, exec, s[4:5]
	s_and_b64 s[0:1], s[0:1], exec
                                        ; implicit-def: $vgpr107
	s_or_saveexec_b64 s[2:3], s[2:3]
	v_mov_b32_e32 v106, s7
	s_xor_b64 exec, exec, s[2:3]
	s_cbranch_execz .LBB8_40
.LBB8_554:
	v_cmp_ne_u16_e32 vcc, 0, v107
	s_andn2_b64 s[0:1], s[0:1], exec
	s_and_b64 s[4:5], vcc, exec
	v_mov_b32_e32 v106, 0
	s_or_b64 s[0:1], s[0:1], s[4:5]
	s_or_b64 exec, exec, s[2:3]
	s_and_saveexec_b64 s[2:3], s[0:1]
	s_cbranch_execnz .LBB8_41
	s_branch .LBB8_42
.LBB8_555:
	s_movk_i32 s0, 0x80
	v_cmp_eq_u16_sdwa s[10:11], v96, s0 src0_sel:BYTE_0 src1_sel:DWORD
	s_mov_b64 s[0:1], -1
                                        ; implicit-def: $sgpr7
	s_and_saveexec_b64 s[4:5], s[10:11]
; %bb.556:
	s_mov_b32 s7, 0x7f800001
	s_xor_b64 s[0:1], exec, -1
; %bb.557:
	s_or_b64 exec, exec, s[4:5]
	s_and_b64 s[0:1], s[0:1], exec
	s_or_saveexec_b64 s[2:3], s[2:3]
	v_mov_b32_e32 v95, s7
	s_xor_b64 exec, exec, s[2:3]
	s_cbranch_execz .LBB8_44
.LBB8_558:
	v_mov_b32_e32 v95, 0
	v_cmp_ne_u16_sdwa s[4:5], v96, v95 src0_sel:BYTE_0 src1_sel:DWORD
	s_andn2_b64 s[0:1], s[0:1], exec
	s_and_b64 s[4:5], s[4:5], exec
	s_or_b64 s[0:1], s[0:1], s[4:5]
	s_or_b64 exec, exec, s[2:3]
	s_and_saveexec_b64 s[2:3], s[0:1]
	s_cbranch_execnz .LBB8_45
	s_branch .LBB8_46
.LBB8_559:
	s_movk_i32 s0, 0x80
	v_cmp_eq_u16_sdwa s[10:11], v96, s0 src0_sel:BYTE_1 src1_sel:DWORD
	s_mov_b64 s[0:1], -1
                                        ; implicit-def: $sgpr7
	s_and_saveexec_b64 s[4:5], s[10:11]
; %bb.560:
	s_mov_b32 s7, 0x7f800001
	s_xor_b64 s[0:1], exec, -1
; %bb.561:
	s_or_b64 exec, exec, s[4:5]
	s_and_b64 s[0:1], s[0:1], exec
	s_or_saveexec_b64 s[2:3], s[2:3]
	v_mov_b32_e32 v107, s7
	s_xor_b64 exec, exec, s[2:3]
	s_cbranch_execz .LBB8_48
.LBB8_562:
	v_mov_b32_e32 v107, 0
	v_cmp_ne_u16_sdwa s[4:5], v96, v107 src0_sel:BYTE_1 src1_sel:DWORD
	s_andn2_b64 s[0:1], s[0:1], exec
	s_and_b64 s[4:5], s[4:5], exec
	s_or_b64 s[0:1], s[0:1], s[4:5]
	s_or_b64 exec, exec, s[2:3]
	s_and_saveexec_b64 s[2:3], s[0:1]
	s_cbranch_execnz .LBB8_49
	s_branch .LBB8_50
.LBB8_563:
	s_movk_i32 s0, 0x80
	v_cmp_eq_u16_e32 vcc, s0, v109
	s_mov_b64 s[0:1], -1
                                        ; implicit-def: $sgpr7
	s_and_saveexec_b64 s[4:5], vcc
; %bb.564:
	s_mov_b32 s7, 0x7f800001
	s_xor_b64 s[0:1], exec, -1
; %bb.565:
	s_or_b64 exec, exec, s[4:5]
	s_and_b64 s[0:1], s[0:1], exec
                                        ; implicit-def: $vgpr109
	s_or_saveexec_b64 s[2:3], s[2:3]
	v_mov_b32_e32 v108, s7
	s_xor_b64 exec, exec, s[2:3]
	s_cbranch_execz .LBB8_52
.LBB8_566:
	v_cmp_ne_u16_e32 vcc, 0, v109
	s_andn2_b64 s[0:1], s[0:1], exec
	s_and_b64 s[4:5], vcc, exec
	v_mov_b32_e32 v108, 0
	s_or_b64 s[0:1], s[0:1], s[4:5]
	s_or_b64 exec, exec, s[2:3]
	s_and_saveexec_b64 s[2:3], s[0:1]
	s_cbranch_execnz .LBB8_53
	s_branch .LBB8_54
.LBB8_567:
	s_movk_i32 s0, 0x80
	v_cmp_eq_u16_e32 vcc, s0, v110
	s_mov_b64 s[0:1], -1
                                        ; implicit-def: $sgpr7
	s_and_saveexec_b64 s[4:5], vcc
; %bb.568:
	s_mov_b32 s7, 0x7f800001
	s_xor_b64 s[0:1], exec, -1
; %bb.569:
	s_or_b64 exec, exec, s[4:5]
	s_and_b64 s[0:1], s[0:1], exec
                                        ; implicit-def: $vgpr110
	s_or_saveexec_b64 s[2:3], s[2:3]
	v_mov_b32_e32 v109, s7
	s_xor_b64 exec, exec, s[2:3]
	s_cbranch_execz .LBB8_56
.LBB8_570:
	v_cmp_ne_u16_e32 vcc, 0, v110
	s_andn2_b64 s[0:1], s[0:1], exec
	s_and_b64 s[4:5], vcc, exec
	v_mov_b32_e32 v109, 0
	s_or_b64 s[0:1], s[0:1], s[4:5]
	s_or_b64 exec, exec, s[2:3]
	s_and_saveexec_b64 s[2:3], s[0:1]
	s_cbranch_execnz .LBB8_57
	s_branch .LBB8_58
.LBB8_571:
	s_movk_i32 s0, 0x80
	v_cmp_eq_u16_sdwa s[10:11], v97, s0 src0_sel:BYTE_0 src1_sel:DWORD
	s_mov_b64 s[0:1], -1
                                        ; implicit-def: $sgpr7
	s_and_saveexec_b64 s[4:5], s[10:11]
; %bb.572:
	s_mov_b32 s7, 0x7f800001
	s_xor_b64 s[0:1], exec, -1
; %bb.573:
	s_or_b64 exec, exec, s[4:5]
	s_and_b64 s[0:1], s[0:1], exec
	s_or_saveexec_b64 s[2:3], s[2:3]
	v_mov_b32_e32 v96, s7
	s_xor_b64 exec, exec, s[2:3]
	s_cbranch_execz .LBB8_60
.LBB8_574:
	v_mov_b32_e32 v96, 0
	v_cmp_ne_u16_sdwa s[4:5], v97, v96 src0_sel:BYTE_0 src1_sel:DWORD
	s_andn2_b64 s[0:1], s[0:1], exec
	s_and_b64 s[4:5], s[4:5], exec
	s_or_b64 s[0:1], s[0:1], s[4:5]
	s_or_b64 exec, exec, s[2:3]
	s_and_saveexec_b64 s[2:3], s[0:1]
	s_cbranch_execnz .LBB8_61
	s_branch .LBB8_62
.LBB8_575:
	s_movk_i32 s0, 0x80
	v_cmp_eq_u16_sdwa s[10:11], v97, s0 src0_sel:BYTE_1 src1_sel:DWORD
	s_mov_b64 s[0:1], -1
                                        ; implicit-def: $sgpr7
	s_and_saveexec_b64 s[4:5], s[10:11]
; %bb.576:
	s_mov_b32 s7, 0x7f800001
	s_xor_b64 s[0:1], exec, -1
; %bb.577:
	s_or_b64 exec, exec, s[4:5]
	s_and_b64 s[0:1], s[0:1], exec
	s_or_saveexec_b64 s[2:3], s[2:3]
	v_mov_b32_e32 v110, s7
	s_xor_b64 exec, exec, s[2:3]
	s_cbranch_execz .LBB8_64
.LBB8_578:
	v_mov_b32_e32 v110, 0
	v_cmp_ne_u16_sdwa s[4:5], v97, v110 src0_sel:BYTE_1 src1_sel:DWORD
	s_andn2_b64 s[0:1], s[0:1], exec
	s_and_b64 s[4:5], s[4:5], exec
	s_or_b64 s[0:1], s[0:1], s[4:5]
	s_or_b64 exec, exec, s[2:3]
	s_and_saveexec_b64 s[2:3], s[0:1]
	s_cbranch_execnz .LBB8_65
	s_branch .LBB8_66
.LBB8_579:
	s_movk_i32 s0, 0x80
	v_cmp_eq_u16_e32 vcc, s0, v112
	s_mov_b64 s[0:1], -1
                                        ; implicit-def: $sgpr7
	s_and_saveexec_b64 s[4:5], vcc
; %bb.580:
	s_mov_b32 s7, 0x7f800001
	s_xor_b64 s[0:1], exec, -1
; %bb.581:
	s_or_b64 exec, exec, s[4:5]
	s_and_b64 s[0:1], s[0:1], exec
                                        ; implicit-def: $vgpr112
	s_or_saveexec_b64 s[2:3], s[2:3]
	v_mov_b32_e32 v111, s7
	s_xor_b64 exec, exec, s[2:3]
	s_cbranch_execz .LBB8_68
.LBB8_582:
	v_cmp_ne_u16_e32 vcc, 0, v112
	s_andn2_b64 s[0:1], s[0:1], exec
	s_and_b64 s[4:5], vcc, exec
	v_mov_b32_e32 v111, 0
	s_or_b64 s[0:1], s[0:1], s[4:5]
	s_or_b64 exec, exec, s[2:3]
	s_and_saveexec_b64 s[2:3], s[0:1]
	s_cbranch_execnz .LBB8_69
	s_branch .LBB8_70
.LBB8_583:
	s_movk_i32 s0, 0x80
	v_cmp_eq_u16_e32 vcc, s0, v113
	s_mov_b64 s[0:1], -1
                                        ; implicit-def: $sgpr7
	s_and_saveexec_b64 s[4:5], vcc
; %bb.584:
	s_mov_b32 s7, 0x7f800001
	s_xor_b64 s[0:1], exec, -1
; %bb.585:
	s_or_b64 exec, exec, s[4:5]
	s_and_b64 s[0:1], s[0:1], exec
                                        ; implicit-def: $vgpr113
	s_or_saveexec_b64 s[2:3], s[2:3]
	v_mov_b32_e32 v112, s7
	s_xor_b64 exec, exec, s[2:3]
	s_cbranch_execz .LBB8_72
.LBB8_586:
	v_cmp_ne_u16_e32 vcc, 0, v113
	s_andn2_b64 s[0:1], s[0:1], exec
	s_and_b64 s[4:5], vcc, exec
	v_mov_b32_e32 v112, 0
	s_or_b64 s[0:1], s[0:1], s[4:5]
	s_or_b64 exec, exec, s[2:3]
	s_and_saveexec_b64 s[2:3], s[0:1]
	s_cbranch_execnz .LBB8_73
	s_branch .LBB8_74
.LBB8_587:
	s_movk_i32 s0, 0x80
	v_cmp_eq_u16_sdwa s[10:11], v90, s0 src0_sel:BYTE_0 src1_sel:DWORD
	s_mov_b64 s[0:1], -1
                                        ; implicit-def: $sgpr7
	s_and_saveexec_b64 s[4:5], s[10:11]
; %bb.588:
	s_mov_b32 s7, 0x7f800001
	s_xor_b64 s[0:1], exec, -1
; %bb.589:
	s_or_b64 exec, exec, s[4:5]
	s_and_b64 s[0:1], s[0:1], exec
	s_or_saveexec_b64 s[2:3], s[2:3]
	v_mov_b32_e32 v97, s7
	s_xor_b64 exec, exec, s[2:3]
	s_cbranch_execz .LBB8_76
.LBB8_590:
	v_mov_b32_e32 v97, 0
	v_cmp_ne_u16_sdwa s[4:5], v90, v97 src0_sel:BYTE_0 src1_sel:DWORD
	s_andn2_b64 s[0:1], s[0:1], exec
	s_and_b64 s[4:5], s[4:5], exec
	s_or_b64 s[0:1], s[0:1], s[4:5]
	s_or_b64 exec, exec, s[2:3]
	s_and_saveexec_b64 s[2:3], s[0:1]
	s_cbranch_execnz .LBB8_77
	s_branch .LBB8_78
.LBB8_591:
	s_movk_i32 s0, 0x80
	v_cmp_eq_u16_sdwa s[10:11], v90, s0 src0_sel:BYTE_1 src1_sel:DWORD
	s_mov_b64 s[0:1], -1
                                        ; implicit-def: $sgpr7
	s_and_saveexec_b64 s[4:5], s[10:11]
; %bb.592:
	s_mov_b32 s7, 0x7f800001
	s_xor_b64 s[0:1], exec, -1
; %bb.593:
	s_or_b64 exec, exec, s[4:5]
	s_and_b64 s[0:1], s[0:1], exec
	s_or_saveexec_b64 s[2:3], s[2:3]
	v_mov_b32_e32 v113, s7
	s_xor_b64 exec, exec, s[2:3]
	s_cbranch_execz .LBB8_80
.LBB8_594:
	v_mov_b32_e32 v113, 0
	v_cmp_ne_u16_sdwa s[4:5], v90, v113 src0_sel:BYTE_1 src1_sel:DWORD
	s_andn2_b64 s[0:1], s[0:1], exec
	s_and_b64 s[4:5], s[4:5], exec
	s_or_b64 s[0:1], s[0:1], s[4:5]
	s_or_b64 exec, exec, s[2:3]
	s_and_saveexec_b64 s[2:3], s[0:1]
	s_cbranch_execnz .LBB8_81
	s_branch .LBB8_82
.LBB8_595:
	s_movk_i32 s0, 0x80
	v_cmp_eq_u16_e32 vcc, s0, v115
	s_mov_b64 s[0:1], -1
                                        ; implicit-def: $sgpr7
	s_and_saveexec_b64 s[4:5], vcc
; %bb.596:
	s_mov_b32 s7, 0x7f800001
	s_xor_b64 s[0:1], exec, -1
; %bb.597:
	s_or_b64 exec, exec, s[4:5]
	s_and_b64 s[0:1], s[0:1], exec
                                        ; implicit-def: $vgpr115
	s_or_saveexec_b64 s[2:3], s[2:3]
	v_mov_b32_e32 v114, s7
	s_xor_b64 exec, exec, s[2:3]
	s_cbranch_execz .LBB8_84
.LBB8_598:
	v_cmp_ne_u16_e32 vcc, 0, v115
	s_andn2_b64 s[0:1], s[0:1], exec
	s_and_b64 s[4:5], vcc, exec
	v_mov_b32_e32 v114, 0
	s_or_b64 s[0:1], s[0:1], s[4:5]
	s_or_b64 exec, exec, s[2:3]
	s_and_saveexec_b64 s[2:3], s[0:1]
	s_cbranch_execnz .LBB8_85
	s_branch .LBB8_86
.LBB8_599:
	s_movk_i32 s0, 0x80
	v_cmp_eq_u16_e32 vcc, s0, v116
	s_mov_b64 s[0:1], -1
                                        ; implicit-def: $sgpr7
	s_and_saveexec_b64 s[4:5], vcc
; %bb.600:
	s_mov_b32 s7, 0x7f800001
	s_xor_b64 s[0:1], exec, -1
; %bb.601:
	s_or_b64 exec, exec, s[4:5]
	s_and_b64 s[0:1], s[0:1], exec
                                        ; implicit-def: $vgpr116
	s_or_saveexec_b64 s[2:3], s[2:3]
	v_mov_b32_e32 v115, s7
	s_xor_b64 exec, exec, s[2:3]
	s_cbranch_execz .LBB8_88
.LBB8_602:
	v_cmp_ne_u16_e32 vcc, 0, v116
	s_andn2_b64 s[0:1], s[0:1], exec
	s_and_b64 s[4:5], vcc, exec
	v_mov_b32_e32 v115, 0
	s_or_b64 s[0:1], s[0:1], s[4:5]
	s_or_b64 exec, exec, s[2:3]
	s_and_saveexec_b64 s[2:3], s[0:1]
	s_cbranch_execnz .LBB8_89
	s_branch .LBB8_90
.LBB8_603:
	s_movk_i32 s0, 0x80
	v_cmp_eq_u16_sdwa s[10:11], v91, s0 src0_sel:BYTE_0 src1_sel:DWORD
	s_mov_b64 s[0:1], -1
                                        ; implicit-def: $sgpr7
	s_and_saveexec_b64 s[4:5], s[10:11]
; %bb.604:
	s_mov_b32 s7, 0x7f800001
	s_xor_b64 s[0:1], exec, -1
; %bb.605:
	s_or_b64 exec, exec, s[4:5]
	s_and_b64 s[0:1], s[0:1], exec
	s_or_saveexec_b64 s[2:3], s[2:3]
	v_mov_b32_e32 v90, s7
	s_xor_b64 exec, exec, s[2:3]
	s_cbranch_execz .LBB8_92
.LBB8_606:
	v_mov_b32_e32 v90, 0
	v_cmp_ne_u16_sdwa s[4:5], v91, v90 src0_sel:BYTE_0 src1_sel:DWORD
	s_andn2_b64 s[0:1], s[0:1], exec
	s_and_b64 s[4:5], s[4:5], exec
	s_or_b64 s[0:1], s[0:1], s[4:5]
	s_or_b64 exec, exec, s[2:3]
	s_and_saveexec_b64 s[2:3], s[0:1]
	s_cbranch_execnz .LBB8_93
	s_branch .LBB8_94
.LBB8_607:
	s_movk_i32 s0, 0x80
	v_cmp_eq_u16_sdwa s[10:11], v91, s0 src0_sel:BYTE_1 src1_sel:DWORD
	s_mov_b64 s[0:1], -1
                                        ; implicit-def: $sgpr7
	s_and_saveexec_b64 s[4:5], s[10:11]
; %bb.608:
	s_mov_b32 s7, 0x7f800001
	s_xor_b64 s[0:1], exec, -1
; %bb.609:
	s_or_b64 exec, exec, s[4:5]
	s_and_b64 s[0:1], s[0:1], exec
	s_or_saveexec_b64 s[2:3], s[2:3]
	v_mov_b32_e32 v116, s7
	s_xor_b64 exec, exec, s[2:3]
	s_cbranch_execz .LBB8_96
.LBB8_610:
	v_mov_b32_e32 v116, 0
	v_cmp_ne_u16_sdwa s[4:5], v91, v116 src0_sel:BYTE_1 src1_sel:DWORD
	s_andn2_b64 s[0:1], s[0:1], exec
	s_and_b64 s[4:5], s[4:5], exec
	s_or_b64 s[0:1], s[0:1], s[4:5]
	s_or_b64 exec, exec, s[2:3]
	s_and_saveexec_b64 s[2:3], s[0:1]
	s_cbranch_execnz .LBB8_97
	s_branch .LBB8_98
.LBB8_611:
	s_movk_i32 s0, 0x80
	v_cmp_eq_u16_e32 vcc, s0, v118
	s_mov_b64 s[0:1], -1
                                        ; implicit-def: $sgpr7
	s_and_saveexec_b64 s[4:5], vcc
; %bb.612:
	s_mov_b32 s7, 0x7f800001
	s_xor_b64 s[0:1], exec, -1
; %bb.613:
	s_or_b64 exec, exec, s[4:5]
	s_and_b64 s[0:1], s[0:1], exec
                                        ; implicit-def: $vgpr118
	s_or_saveexec_b64 s[2:3], s[2:3]
	v_mov_b32_e32 v117, s7
	s_xor_b64 exec, exec, s[2:3]
	s_cbranch_execz .LBB8_100
.LBB8_614:
	v_cmp_ne_u16_e32 vcc, 0, v118
	s_andn2_b64 s[0:1], s[0:1], exec
	s_and_b64 s[4:5], vcc, exec
	v_mov_b32_e32 v117, 0
	s_or_b64 s[0:1], s[0:1], s[4:5]
	s_or_b64 exec, exec, s[2:3]
	s_and_saveexec_b64 s[2:3], s[0:1]
	s_cbranch_execnz .LBB8_101
	s_branch .LBB8_102
.LBB8_615:
	s_movk_i32 s0, 0x80
	v_cmp_eq_u16_e32 vcc, s0, v119
	s_mov_b64 s[0:1], -1
                                        ; implicit-def: $sgpr7
	s_and_saveexec_b64 s[4:5], vcc
; %bb.616:
	s_mov_b32 s7, 0x7f800001
	s_xor_b64 s[0:1], exec, -1
; %bb.617:
	s_or_b64 exec, exec, s[4:5]
	s_and_b64 s[0:1], s[0:1], exec
                                        ; implicit-def: $vgpr119
	s_or_saveexec_b64 s[2:3], s[2:3]
	v_mov_b32_e32 v118, s7
	s_xor_b64 exec, exec, s[2:3]
	s_cbranch_execz .LBB8_104
.LBB8_618:
	v_cmp_ne_u16_e32 vcc, 0, v119
	s_andn2_b64 s[0:1], s[0:1], exec
	s_and_b64 s[4:5], vcc, exec
	v_mov_b32_e32 v118, 0
	s_or_b64 s[0:1], s[0:1], s[4:5]
	s_or_b64 exec, exec, s[2:3]
	s_and_saveexec_b64 s[2:3], s[0:1]
	s_cbranch_execnz .LBB8_105
	s_branch .LBB8_106
.LBB8_619:
	s_movk_i32 s0, 0x80
	v_cmp_eq_u16_sdwa s[10:11], v92, s0 src0_sel:BYTE_0 src1_sel:DWORD
	s_mov_b64 s[0:1], -1
                                        ; implicit-def: $sgpr7
	s_and_saveexec_b64 s[4:5], s[10:11]
; %bb.620:
	s_mov_b32 s7, 0x7f800001
	s_xor_b64 s[0:1], exec, -1
; %bb.621:
	s_or_b64 exec, exec, s[4:5]
	s_and_b64 s[0:1], s[0:1], exec
	s_or_saveexec_b64 s[2:3], s[2:3]
	v_mov_b32_e32 v91, s7
	s_xor_b64 exec, exec, s[2:3]
	s_cbranch_execz .LBB8_108
.LBB8_622:
	v_mov_b32_e32 v91, 0
	v_cmp_ne_u16_sdwa s[4:5], v92, v91 src0_sel:BYTE_0 src1_sel:DWORD
	s_andn2_b64 s[0:1], s[0:1], exec
	s_and_b64 s[4:5], s[4:5], exec
	s_or_b64 s[0:1], s[0:1], s[4:5]
	s_or_b64 exec, exec, s[2:3]
	s_and_saveexec_b64 s[2:3], s[0:1]
	s_cbranch_execnz .LBB8_109
	s_branch .LBB8_110
.LBB8_623:
	s_movk_i32 s0, 0x80
	v_cmp_eq_u16_sdwa s[10:11], v92, s0 src0_sel:BYTE_1 src1_sel:DWORD
	s_mov_b64 s[0:1], -1
                                        ; implicit-def: $sgpr7
	s_and_saveexec_b64 s[4:5], s[10:11]
; %bb.624:
	s_mov_b32 s7, 0x7f800001
	s_xor_b64 s[0:1], exec, -1
; %bb.625:
	s_or_b64 exec, exec, s[4:5]
	s_and_b64 s[0:1], s[0:1], exec
	s_or_saveexec_b64 s[2:3], s[2:3]
	v_mov_b32_e32 v119, s7
	s_xor_b64 exec, exec, s[2:3]
	s_cbranch_execz .LBB8_112
.LBB8_626:
	v_mov_b32_e32 v119, 0
	v_cmp_ne_u16_sdwa s[4:5], v92, v119 src0_sel:BYTE_1 src1_sel:DWORD
	s_andn2_b64 s[0:1], s[0:1], exec
	s_and_b64 s[4:5], s[4:5], exec
	s_or_b64 s[0:1], s[0:1], s[4:5]
	s_or_b64 exec, exec, s[2:3]
	s_and_saveexec_b64 s[2:3], s[0:1]
	s_cbranch_execnz .LBB8_113
	s_branch .LBB8_114
.LBB8_627:
	s_movk_i32 s0, 0x80
	v_cmp_eq_u16_e32 vcc, s0, v121
	s_mov_b64 s[0:1], -1
                                        ; implicit-def: $sgpr7
	s_and_saveexec_b64 s[4:5], vcc
; %bb.628:
	s_mov_b32 s7, 0x7f800001
	s_xor_b64 s[0:1], exec, -1
; %bb.629:
	s_or_b64 exec, exec, s[4:5]
	s_and_b64 s[0:1], s[0:1], exec
                                        ; implicit-def: $vgpr121
	s_or_saveexec_b64 s[2:3], s[2:3]
	v_mov_b32_e32 v120, s7
	s_xor_b64 exec, exec, s[2:3]
	s_cbranch_execz .LBB8_116
.LBB8_630:
	v_cmp_ne_u16_e32 vcc, 0, v121
	s_andn2_b64 s[0:1], s[0:1], exec
	s_and_b64 s[4:5], vcc, exec
	v_mov_b32_e32 v120, 0
	s_or_b64 s[0:1], s[0:1], s[4:5]
	s_or_b64 exec, exec, s[2:3]
	s_and_saveexec_b64 s[2:3], s[0:1]
	s_cbranch_execnz .LBB8_117
	s_branch .LBB8_118
.LBB8_631:
	s_movk_i32 s0, 0x80
	v_cmp_eq_u16_e32 vcc, s0, v122
	s_mov_b64 s[0:1], -1
                                        ; implicit-def: $sgpr7
	s_and_saveexec_b64 s[4:5], vcc
; %bb.632:
	s_mov_b32 s7, 0x7f800001
	s_xor_b64 s[0:1], exec, -1
; %bb.633:
	s_or_b64 exec, exec, s[4:5]
	s_and_b64 s[0:1], s[0:1], exec
                                        ; implicit-def: $vgpr122
	s_or_saveexec_b64 s[2:3], s[2:3]
	v_mov_b32_e32 v121, s7
	s_xor_b64 exec, exec, s[2:3]
	s_cbranch_execz .LBB8_120
.LBB8_634:
	v_cmp_ne_u16_e32 vcc, 0, v122
	s_andn2_b64 s[0:1], s[0:1], exec
	s_and_b64 s[4:5], vcc, exec
	v_mov_b32_e32 v121, 0
	s_or_b64 s[0:1], s[0:1], s[4:5]
	s_or_b64 exec, exec, s[2:3]
	s_and_saveexec_b64 s[2:3], s[0:1]
	s_cbranch_execnz .LBB8_121
	s_branch .LBB8_122
.LBB8_635:
	s_movk_i32 s0, 0x80
	v_cmp_eq_u16_sdwa s[10:11], v93, s0 src0_sel:BYTE_0 src1_sel:DWORD
	s_mov_b64 s[0:1], -1
                                        ; implicit-def: $sgpr7
	s_and_saveexec_b64 s[4:5], s[10:11]
; %bb.636:
	s_mov_b32 s7, 0x7f800001
	s_xor_b64 s[0:1], exec, -1
; %bb.637:
	s_or_b64 exec, exec, s[4:5]
	s_and_b64 s[0:1], s[0:1], exec
	s_or_saveexec_b64 s[2:3], s[2:3]
	v_mov_b32_e32 v92, s7
	s_xor_b64 exec, exec, s[2:3]
	s_cbranch_execz .LBB8_124
.LBB8_638:
	v_mov_b32_e32 v92, 0
	v_cmp_ne_u16_sdwa s[4:5], v93, v92 src0_sel:BYTE_0 src1_sel:DWORD
	s_andn2_b64 s[0:1], s[0:1], exec
	s_and_b64 s[4:5], s[4:5], exec
	s_or_b64 s[0:1], s[0:1], s[4:5]
	s_or_b64 exec, exec, s[2:3]
	s_and_saveexec_b64 s[2:3], s[0:1]
	s_cbranch_execnz .LBB8_125
	s_branch .LBB8_126
.LBB8_639:
	s_movk_i32 s0, 0x80
	v_cmp_eq_u16_sdwa s[10:11], v93, s0 src0_sel:BYTE_1 src1_sel:DWORD
	s_mov_b64 s[0:1], -1
                                        ; implicit-def: $sgpr7
	s_and_saveexec_b64 s[4:5], s[10:11]
; %bb.640:
	s_mov_b32 s7, 0x7f800001
	s_xor_b64 s[0:1], exec, -1
; %bb.641:
	s_or_b64 exec, exec, s[4:5]
	s_and_b64 s[0:1], s[0:1], exec
	s_or_saveexec_b64 s[2:3], s[2:3]
	v_mov_b32_e32 v122, s7
	s_xor_b64 exec, exec, s[2:3]
	s_cbranch_execz .LBB8_128
.LBB8_642:
	v_mov_b32_e32 v122, 0
	v_cmp_ne_u16_sdwa s[4:5], v93, v122 src0_sel:BYTE_1 src1_sel:DWORD
	s_andn2_b64 s[0:1], s[0:1], exec
	s_and_b64 s[4:5], s[4:5], exec
	s_or_b64 s[0:1], s[0:1], s[4:5]
	s_or_b64 exec, exec, s[2:3]
	s_and_saveexec_b64 s[2:3], s[0:1]
	s_cbranch_execnz .LBB8_129
	s_branch .LBB8_130
.LBB8_643:
	s_movk_i32 s0, 0x80
	v_cmp_eq_u16_e32 vcc, s0, v124
	s_mov_b64 s[0:1], -1
                                        ; implicit-def: $sgpr7
	s_and_saveexec_b64 s[4:5], vcc
; %bb.644:
	s_mov_b32 s7, 0x7f800001
	s_xor_b64 s[0:1], exec, -1
; %bb.645:
	s_or_b64 exec, exec, s[4:5]
	s_and_b64 s[0:1], s[0:1], exec
                                        ; implicit-def: $vgpr124
	s_or_saveexec_b64 s[2:3], s[2:3]
	v_mov_b32_e32 v123, s7
	s_xor_b64 exec, exec, s[2:3]
	s_cbranch_execz .LBB8_132
.LBB8_646:
	v_cmp_ne_u16_e32 vcc, 0, v124
	s_andn2_b64 s[0:1], s[0:1], exec
	s_and_b64 s[4:5], vcc, exec
	v_mov_b32_e32 v123, 0
	s_or_b64 s[0:1], s[0:1], s[4:5]
	s_or_b64 exec, exec, s[2:3]
	s_and_saveexec_b64 s[2:3], s[0:1]
	s_cbranch_execnz .LBB8_133
	s_branch .LBB8_134
.LBB8_647:
	s_movk_i32 s0, 0x80
	v_cmp_eq_u16_e32 vcc, s0, v125
	s_mov_b64 s[0:1], -1
                                        ; implicit-def: $sgpr7
	s_and_saveexec_b64 s[4:5], vcc
; %bb.648:
	s_mov_b32 s7, 0x7f800001
	s_xor_b64 s[0:1], exec, -1
; %bb.649:
	s_or_b64 exec, exec, s[4:5]
	s_and_b64 s[0:1], s[0:1], exec
                                        ; implicit-def: $vgpr125
	s_or_saveexec_b64 s[2:3], s[2:3]
	v_mov_b32_e32 v124, s7
	s_xor_b64 exec, exec, s[2:3]
	s_cbranch_execz .LBB8_136
.LBB8_650:
	v_cmp_ne_u16_e32 vcc, 0, v125
	s_andn2_b64 s[0:1], s[0:1], exec
	s_and_b64 s[4:5], vcc, exec
	v_mov_b32_e32 v124, 0
	s_or_b64 s[0:1], s[0:1], s[4:5]
	s_or_b64 exec, exec, s[2:3]
	s_and_saveexec_b64 s[2:3], s[0:1]
	s_cbranch_execnz .LBB8_137
	s_branch .LBB8_138
.LBB8_651:
	s_movk_i32 s0, 0x80
	v_cmp_eq_u16_sdwa s[10:11], v86, s0 src0_sel:BYTE_0 src1_sel:DWORD
	s_mov_b64 s[0:1], -1
                                        ; implicit-def: $sgpr7
	s_and_saveexec_b64 s[4:5], s[10:11]
; %bb.652:
	s_mov_b32 s7, 0x7f800001
	s_xor_b64 s[0:1], exec, -1
; %bb.653:
	s_or_b64 exec, exec, s[4:5]
	s_and_b64 s[0:1], s[0:1], exec
	s_or_saveexec_b64 s[2:3], s[2:3]
	v_mov_b32_e32 v93, s7
	s_xor_b64 exec, exec, s[2:3]
	s_cbranch_execz .LBB8_140
.LBB8_654:
	v_mov_b32_e32 v93, 0
	v_cmp_ne_u16_sdwa s[4:5], v86, v93 src0_sel:BYTE_0 src1_sel:DWORD
	s_andn2_b64 s[0:1], s[0:1], exec
	s_and_b64 s[4:5], s[4:5], exec
	s_or_b64 s[0:1], s[0:1], s[4:5]
	s_or_b64 exec, exec, s[2:3]
	s_and_saveexec_b64 s[2:3], s[0:1]
	s_cbranch_execnz .LBB8_141
	s_branch .LBB8_142
.LBB8_655:
	s_movk_i32 s0, 0x80
	v_cmp_eq_u16_sdwa s[10:11], v86, s0 src0_sel:BYTE_1 src1_sel:DWORD
	s_mov_b64 s[0:1], -1
                                        ; implicit-def: $sgpr7
	s_and_saveexec_b64 s[4:5], s[10:11]
; %bb.656:
	s_mov_b32 s7, 0x7f800001
	s_xor_b64 s[0:1], exec, -1
; %bb.657:
	s_or_b64 exec, exec, s[4:5]
	s_and_b64 s[0:1], s[0:1], exec
	s_or_saveexec_b64 s[2:3], s[2:3]
	v_mov_b32_e32 v125, s7
	s_xor_b64 exec, exec, s[2:3]
	s_cbranch_execz .LBB8_144
.LBB8_658:
	v_mov_b32_e32 v125, 0
	v_cmp_ne_u16_sdwa s[4:5], v86, v125 src0_sel:BYTE_1 src1_sel:DWORD
	s_andn2_b64 s[0:1], s[0:1], exec
	s_and_b64 s[4:5], s[4:5], exec
	s_or_b64 s[0:1], s[0:1], s[4:5]
	s_or_b64 exec, exec, s[2:3]
	s_and_saveexec_b64 s[2:3], s[0:1]
	s_cbranch_execnz .LBB8_145
	s_branch .LBB8_146
.LBB8_659:
	s_movk_i32 s0, 0x80
	v_cmp_eq_u16_e32 vcc, s0, v127
	s_mov_b64 s[0:1], -1
                                        ; implicit-def: $sgpr7
	s_and_saveexec_b64 s[4:5], vcc
; %bb.660:
	s_mov_b32 s7, 0x7f800001
	s_xor_b64 s[0:1], exec, -1
; %bb.661:
	s_or_b64 exec, exec, s[4:5]
	s_and_b64 s[0:1], s[0:1], exec
                                        ; implicit-def: $vgpr127
	s_or_saveexec_b64 s[2:3], s[2:3]
	v_mov_b32_e32 v126, s7
	s_xor_b64 exec, exec, s[2:3]
	s_cbranch_execz .LBB8_148
.LBB8_662:
	v_cmp_ne_u16_e32 vcc, 0, v127
	s_andn2_b64 s[0:1], s[0:1], exec
	s_and_b64 s[4:5], vcc, exec
	v_mov_b32_e32 v126, 0
	s_or_b64 s[0:1], s[0:1], s[4:5]
	s_or_b64 exec, exec, s[2:3]
	s_and_saveexec_b64 s[2:3], s[0:1]
	s_cbranch_execnz .LBB8_149
	s_branch .LBB8_150
.LBB8_663:
	s_movk_i32 s0, 0x80
	v_cmp_eq_u16_e32 vcc, s0, v128
	s_mov_b64 s[0:1], -1
                                        ; implicit-def: $sgpr7
	s_and_saveexec_b64 s[4:5], vcc
; %bb.664:
	s_mov_b32 s7, 0x7f800001
	s_xor_b64 s[0:1], exec, -1
; %bb.665:
	s_or_b64 exec, exec, s[4:5]
	s_and_b64 s[0:1], s[0:1], exec
                                        ; implicit-def: $vgpr128
	s_or_saveexec_b64 s[2:3], s[2:3]
	v_mov_b32_e32 v127, s7
	s_xor_b64 exec, exec, s[2:3]
	s_cbranch_execz .LBB8_152
.LBB8_666:
	v_cmp_ne_u16_e32 vcc, 0, v128
	s_andn2_b64 s[0:1], s[0:1], exec
	s_and_b64 s[4:5], vcc, exec
	v_mov_b32_e32 v127, 0
	s_or_b64 s[0:1], s[0:1], s[4:5]
	s_or_b64 exec, exec, s[2:3]
	s_and_saveexec_b64 s[2:3], s[0:1]
	s_cbranch_execnz .LBB8_153
	s_branch .LBB8_154
.LBB8_667:
	s_movk_i32 s0, 0x80
	v_cmp_eq_u16_sdwa s[10:11], v87, s0 src0_sel:BYTE_0 src1_sel:DWORD
	s_mov_b64 s[0:1], -1
                                        ; implicit-def: $sgpr7
	s_and_saveexec_b64 s[4:5], s[10:11]
; %bb.668:
	s_mov_b32 s7, 0x7f800001
	s_xor_b64 s[0:1], exec, -1
; %bb.669:
	s_or_b64 exec, exec, s[4:5]
	s_and_b64 s[0:1], s[0:1], exec
	s_or_saveexec_b64 s[2:3], s[2:3]
	v_mov_b32_e32 v86, s7
	s_xor_b64 exec, exec, s[2:3]
	s_cbranch_execz .LBB8_156
.LBB8_670:
	v_mov_b32_e32 v86, 0
	v_cmp_ne_u16_sdwa s[4:5], v87, v86 src0_sel:BYTE_0 src1_sel:DWORD
	s_andn2_b64 s[0:1], s[0:1], exec
	s_and_b64 s[4:5], s[4:5], exec
	s_or_b64 s[0:1], s[0:1], s[4:5]
	s_or_b64 exec, exec, s[2:3]
	s_and_saveexec_b64 s[2:3], s[0:1]
	s_cbranch_execnz .LBB8_157
	s_branch .LBB8_158
.LBB8_671:
	s_movk_i32 s0, 0x80
	v_cmp_eq_u16_sdwa s[10:11], v87, s0 src0_sel:BYTE_1 src1_sel:DWORD
	s_mov_b64 s[0:1], -1
                                        ; implicit-def: $sgpr7
	s_and_saveexec_b64 s[4:5], s[10:11]
; %bb.672:
	s_mov_b32 s7, 0x7f800001
	s_xor_b64 s[0:1], exec, -1
; %bb.673:
	s_or_b64 exec, exec, s[4:5]
	s_and_b64 s[0:1], s[0:1], exec
	s_or_saveexec_b64 s[2:3], s[2:3]
	v_mov_b32_e32 v128, s7
	s_xor_b64 exec, exec, s[2:3]
	s_cbranch_execz .LBB8_160
.LBB8_674:
	v_mov_b32_e32 v128, 0
	v_cmp_ne_u16_sdwa s[4:5], v87, v128 src0_sel:BYTE_1 src1_sel:DWORD
	s_andn2_b64 s[0:1], s[0:1], exec
	s_and_b64 s[4:5], s[4:5], exec
	s_or_b64 s[0:1], s[0:1], s[4:5]
	s_or_b64 exec, exec, s[2:3]
	s_and_saveexec_b64 s[2:3], s[0:1]
	s_cbranch_execnz .LBB8_161
	s_branch .LBB8_162
.LBB8_675:
	s_movk_i32 s0, 0x80
	v_cmp_eq_u16_e32 vcc, s0, v130
	s_mov_b64 s[0:1], -1
                                        ; implicit-def: $sgpr7
	s_and_saveexec_b64 s[4:5], vcc
; %bb.676:
	s_mov_b32 s7, 0x7f800001
	s_xor_b64 s[0:1], exec, -1
; %bb.677:
	s_or_b64 exec, exec, s[4:5]
	s_and_b64 s[0:1], s[0:1], exec
                                        ; implicit-def: $vgpr130
	s_or_saveexec_b64 s[2:3], s[2:3]
	v_mov_b32_e32 v129, s7
	s_xor_b64 exec, exec, s[2:3]
	s_cbranch_execz .LBB8_164
.LBB8_678:
	v_cmp_ne_u16_e32 vcc, 0, v130
	s_andn2_b64 s[0:1], s[0:1], exec
	s_and_b64 s[4:5], vcc, exec
	v_mov_b32_e32 v129, 0
	s_or_b64 s[0:1], s[0:1], s[4:5]
	s_or_b64 exec, exec, s[2:3]
	s_and_saveexec_b64 s[2:3], s[0:1]
	s_cbranch_execnz .LBB8_165
	s_branch .LBB8_166
.LBB8_679:
	s_movk_i32 s0, 0x80
	v_cmp_eq_u16_e32 vcc, s0, v131
	s_mov_b64 s[0:1], -1
                                        ; implicit-def: $sgpr7
	s_and_saveexec_b64 s[4:5], vcc
; %bb.680:
	s_mov_b32 s7, 0x7f800001
	s_xor_b64 s[0:1], exec, -1
; %bb.681:
	s_or_b64 exec, exec, s[4:5]
	s_and_b64 s[0:1], s[0:1], exec
                                        ; implicit-def: $vgpr131
	s_or_saveexec_b64 s[2:3], s[2:3]
	v_mov_b32_e32 v130, s7
	s_xor_b64 exec, exec, s[2:3]
	s_cbranch_execz .LBB8_168
.LBB8_682:
	v_cmp_ne_u16_e32 vcc, 0, v131
	s_andn2_b64 s[0:1], s[0:1], exec
	s_and_b64 s[4:5], vcc, exec
	v_mov_b32_e32 v130, 0
	s_or_b64 s[0:1], s[0:1], s[4:5]
	s_or_b64 exec, exec, s[2:3]
	s_and_saveexec_b64 s[2:3], s[0:1]
	s_cbranch_execnz .LBB8_169
	s_branch .LBB8_170
.LBB8_683:
	s_movk_i32 s0, 0x80
	v_cmp_eq_u16_sdwa s[10:11], v88, s0 src0_sel:BYTE_0 src1_sel:DWORD
	s_mov_b64 s[0:1], -1
                                        ; implicit-def: $sgpr7
	s_and_saveexec_b64 s[4:5], s[10:11]
; %bb.684:
	s_mov_b32 s7, 0x7f800001
	s_xor_b64 s[0:1], exec, -1
; %bb.685:
	s_or_b64 exec, exec, s[4:5]
	s_and_b64 s[0:1], s[0:1], exec
	s_or_saveexec_b64 s[2:3], s[2:3]
	v_mov_b32_e32 v87, s7
	s_xor_b64 exec, exec, s[2:3]
	s_cbranch_execz .LBB8_172
.LBB8_686:
	v_mov_b32_e32 v87, 0
	v_cmp_ne_u16_sdwa s[4:5], v88, v87 src0_sel:BYTE_0 src1_sel:DWORD
	s_andn2_b64 s[0:1], s[0:1], exec
	s_and_b64 s[4:5], s[4:5], exec
	s_or_b64 s[0:1], s[0:1], s[4:5]
	s_or_b64 exec, exec, s[2:3]
	s_and_saveexec_b64 s[2:3], s[0:1]
	s_cbranch_execnz .LBB8_173
	s_branch .LBB8_174
.LBB8_687:
	s_movk_i32 s0, 0x80
	v_cmp_eq_u16_sdwa s[10:11], v88, s0 src0_sel:BYTE_1 src1_sel:DWORD
	s_mov_b64 s[0:1], -1
                                        ; implicit-def: $sgpr7
	s_and_saveexec_b64 s[4:5], s[10:11]
; %bb.688:
	s_mov_b32 s7, 0x7f800001
	s_xor_b64 s[0:1], exec, -1
; %bb.689:
	s_or_b64 exec, exec, s[4:5]
	s_and_b64 s[0:1], s[0:1], exec
	s_or_saveexec_b64 s[2:3], s[2:3]
	v_mov_b32_e32 v131, s7
	s_xor_b64 exec, exec, s[2:3]
	s_cbranch_execz .LBB8_176
.LBB8_690:
	v_mov_b32_e32 v131, 0
	v_cmp_ne_u16_sdwa s[4:5], v88, v131 src0_sel:BYTE_1 src1_sel:DWORD
	s_andn2_b64 s[0:1], s[0:1], exec
	s_and_b64 s[4:5], s[4:5], exec
	s_or_b64 s[0:1], s[0:1], s[4:5]
	s_or_b64 exec, exec, s[2:3]
	s_and_saveexec_b64 s[2:3], s[0:1]
	s_cbranch_execnz .LBB8_177
	s_branch .LBB8_178
.LBB8_691:
	s_movk_i32 s0, 0x80
	v_cmp_eq_u16_e32 vcc, s0, v133
	s_mov_b64 s[0:1], -1
                                        ; implicit-def: $sgpr7
	s_and_saveexec_b64 s[4:5], vcc
; %bb.692:
	s_mov_b32 s7, 0x7f800001
	s_xor_b64 s[0:1], exec, -1
; %bb.693:
	s_or_b64 exec, exec, s[4:5]
	s_and_b64 s[0:1], s[0:1], exec
                                        ; implicit-def: $vgpr133
	s_or_saveexec_b64 s[2:3], s[2:3]
	v_mov_b32_e32 v132, s7
	s_xor_b64 exec, exec, s[2:3]
	s_cbranch_execz .LBB8_180
.LBB8_694:
	v_cmp_ne_u16_e32 vcc, 0, v133
	s_andn2_b64 s[0:1], s[0:1], exec
	s_and_b64 s[4:5], vcc, exec
	v_mov_b32_e32 v132, 0
	s_or_b64 s[0:1], s[0:1], s[4:5]
	s_or_b64 exec, exec, s[2:3]
	s_and_saveexec_b64 s[2:3], s[0:1]
	s_cbranch_execnz .LBB8_181
	s_branch .LBB8_182
.LBB8_695:
	s_movk_i32 s0, 0x80
	v_cmp_eq_u16_e32 vcc, s0, v134
	s_mov_b64 s[0:1], -1
                                        ; implicit-def: $sgpr7
	s_and_saveexec_b64 s[4:5], vcc
; %bb.696:
	s_mov_b32 s7, 0x7f800001
	s_xor_b64 s[0:1], exec, -1
; %bb.697:
	s_or_b64 exec, exec, s[4:5]
	s_and_b64 s[0:1], s[0:1], exec
                                        ; implicit-def: $vgpr134
	s_or_saveexec_b64 s[2:3], s[2:3]
	v_mov_b32_e32 v133, s7
	s_xor_b64 exec, exec, s[2:3]
	s_cbranch_execz .LBB8_184
.LBB8_698:
	v_cmp_ne_u16_e32 vcc, 0, v134
	s_andn2_b64 s[0:1], s[0:1], exec
	s_and_b64 s[4:5], vcc, exec
	v_mov_b32_e32 v133, 0
	s_or_b64 s[0:1], s[0:1], s[4:5]
	s_or_b64 exec, exec, s[2:3]
	s_and_saveexec_b64 s[2:3], s[0:1]
	s_cbranch_execnz .LBB8_185
	s_branch .LBB8_186
.LBB8_699:
	s_movk_i32 s0, 0x80
	v_cmp_eq_u16_sdwa s[10:11], v89, s0 src0_sel:BYTE_0 src1_sel:DWORD
	s_mov_b64 s[0:1], -1
                                        ; implicit-def: $sgpr7
	s_and_saveexec_b64 s[4:5], s[10:11]
; %bb.700:
	s_mov_b32 s7, 0x7f800001
	s_xor_b64 s[0:1], exec, -1
; %bb.701:
	s_or_b64 exec, exec, s[4:5]
	s_and_b64 s[0:1], s[0:1], exec
	s_or_saveexec_b64 s[2:3], s[2:3]
	v_mov_b32_e32 v88, s7
	s_xor_b64 exec, exec, s[2:3]
	s_cbranch_execz .LBB8_188
.LBB8_702:
	v_mov_b32_e32 v88, 0
	v_cmp_ne_u16_sdwa s[4:5], v89, v88 src0_sel:BYTE_0 src1_sel:DWORD
	s_andn2_b64 s[0:1], s[0:1], exec
	s_and_b64 s[4:5], s[4:5], exec
	s_or_b64 s[0:1], s[0:1], s[4:5]
	s_or_b64 exec, exec, s[2:3]
	s_and_saveexec_b64 s[2:3], s[0:1]
	s_cbranch_execnz .LBB8_189
	s_branch .LBB8_190
.LBB8_703:
	s_movk_i32 s0, 0x80
	v_cmp_eq_u16_sdwa s[10:11], v89, s0 src0_sel:BYTE_1 src1_sel:DWORD
	s_mov_b64 s[0:1], -1
                                        ; implicit-def: $sgpr7
	s_and_saveexec_b64 s[4:5], s[10:11]
; %bb.704:
	s_mov_b32 s7, 0x7f800001
	s_xor_b64 s[0:1], exec, -1
; %bb.705:
	s_or_b64 exec, exec, s[4:5]
	s_and_b64 s[0:1], s[0:1], exec
	s_or_saveexec_b64 s[2:3], s[2:3]
	v_mov_b32_e32 v134, s7
	s_xor_b64 exec, exec, s[2:3]
	s_cbranch_execz .LBB8_192
.LBB8_706:
	v_mov_b32_e32 v134, 0
	v_cmp_ne_u16_sdwa s[4:5], v89, v134 src0_sel:BYTE_1 src1_sel:DWORD
	s_andn2_b64 s[0:1], s[0:1], exec
	s_and_b64 s[4:5], s[4:5], exec
	s_or_b64 s[0:1], s[0:1], s[4:5]
	s_or_b64 exec, exec, s[2:3]
	s_and_saveexec_b64 s[2:3], s[0:1]
	s_cbranch_execnz .LBB8_193
	s_branch .LBB8_194
.LBB8_707:
	s_movk_i32 s0, 0x80
	v_cmp_eq_u16_e32 vcc, s0, v136
	s_mov_b64 s[0:1], -1
                                        ; implicit-def: $sgpr7
	s_and_saveexec_b64 s[4:5], vcc
; %bb.708:
	s_mov_b32 s7, 0x7f800001
	s_xor_b64 s[0:1], exec, -1
; %bb.709:
	s_or_b64 exec, exec, s[4:5]
	s_and_b64 s[0:1], s[0:1], exec
                                        ; implicit-def: $vgpr136
	s_or_saveexec_b64 s[2:3], s[2:3]
	v_mov_b32_e32 v135, s7
	s_xor_b64 exec, exec, s[2:3]
	s_cbranch_execz .LBB8_196
.LBB8_710:
	v_cmp_ne_u16_e32 vcc, 0, v136
	s_andn2_b64 s[0:1], s[0:1], exec
	s_and_b64 s[4:5], vcc, exec
	v_mov_b32_e32 v135, 0
	s_or_b64 s[0:1], s[0:1], s[4:5]
	s_or_b64 exec, exec, s[2:3]
	s_and_saveexec_b64 s[2:3], s[0:1]
	s_cbranch_execnz .LBB8_197
	s_branch .LBB8_198
.LBB8_711:
	s_movk_i32 s0, 0x80
	v_cmp_eq_u16_e32 vcc, s0, v137
	s_mov_b64 s[0:1], -1
                                        ; implicit-def: $sgpr7
	s_and_saveexec_b64 s[4:5], vcc
; %bb.712:
	s_mov_b32 s7, 0x7f800001
	s_xor_b64 s[0:1], exec, -1
; %bb.713:
	s_or_b64 exec, exec, s[4:5]
	s_and_b64 s[0:1], s[0:1], exec
                                        ; implicit-def: $vgpr137
	s_or_saveexec_b64 s[2:3], s[2:3]
	v_mov_b32_e32 v136, s7
	s_xor_b64 exec, exec, s[2:3]
	s_cbranch_execz .LBB8_200
.LBB8_714:
	v_cmp_ne_u16_e32 vcc, 0, v137
	s_andn2_b64 s[0:1], s[0:1], exec
	s_and_b64 s[4:5], vcc, exec
	v_mov_b32_e32 v136, 0
	s_or_b64 s[0:1], s[0:1], s[4:5]
	s_or_b64 exec, exec, s[2:3]
	s_and_saveexec_b64 s[2:3], s[0:1]
	s_cbranch_execnz .LBB8_201
	s_branch .LBB8_202
.LBB8_715:
	s_movk_i32 s0, 0x80
	v_cmp_eq_u16_sdwa s[10:11], v82, s0 src0_sel:BYTE_0 src1_sel:DWORD
	s_mov_b64 s[0:1], -1
                                        ; implicit-def: $sgpr7
	s_and_saveexec_b64 s[4:5], s[10:11]
; %bb.716:
	s_mov_b32 s7, 0x7f800001
	s_xor_b64 s[0:1], exec, -1
; %bb.717:
	s_or_b64 exec, exec, s[4:5]
	s_and_b64 s[0:1], s[0:1], exec
	s_or_saveexec_b64 s[2:3], s[2:3]
	v_mov_b32_e32 v89, s7
	s_xor_b64 exec, exec, s[2:3]
	s_cbranch_execz .LBB8_204
.LBB8_718:
	v_mov_b32_e32 v89, 0
	v_cmp_ne_u16_sdwa s[4:5], v82, v89 src0_sel:BYTE_0 src1_sel:DWORD
	s_andn2_b64 s[0:1], s[0:1], exec
	s_and_b64 s[4:5], s[4:5], exec
	s_or_b64 s[0:1], s[0:1], s[4:5]
	s_or_b64 exec, exec, s[2:3]
	s_and_saveexec_b64 s[2:3], s[0:1]
	s_cbranch_execnz .LBB8_205
	s_branch .LBB8_206
.LBB8_719:
	s_movk_i32 s0, 0x80
	v_cmp_eq_u16_sdwa s[10:11], v82, s0 src0_sel:BYTE_1 src1_sel:DWORD
	s_mov_b64 s[0:1], -1
                                        ; implicit-def: $sgpr7
	s_and_saveexec_b64 s[4:5], s[10:11]
; %bb.720:
	s_mov_b32 s7, 0x7f800001
	s_xor_b64 s[0:1], exec, -1
; %bb.721:
	s_or_b64 exec, exec, s[4:5]
	s_and_b64 s[0:1], s[0:1], exec
	s_or_saveexec_b64 s[2:3], s[2:3]
	v_mov_b32_e32 v137, s7
	s_xor_b64 exec, exec, s[2:3]
	s_cbranch_execz .LBB8_208
.LBB8_722:
	v_mov_b32_e32 v137, 0
	v_cmp_ne_u16_sdwa s[4:5], v82, v137 src0_sel:BYTE_1 src1_sel:DWORD
	s_andn2_b64 s[0:1], s[0:1], exec
	s_and_b64 s[4:5], s[4:5], exec
	s_or_b64 s[0:1], s[0:1], s[4:5]
	s_or_b64 exec, exec, s[2:3]
	s_and_saveexec_b64 s[2:3], s[0:1]
	s_cbranch_execnz .LBB8_209
	s_branch .LBB8_210
.LBB8_723:
	s_movk_i32 s0, 0x80
	v_cmp_eq_u16_e32 vcc, s0, v139
	s_mov_b64 s[0:1], -1
                                        ; implicit-def: $sgpr7
	s_and_saveexec_b64 s[4:5], vcc
; %bb.724:
	s_mov_b32 s7, 0x7f800001
	s_xor_b64 s[0:1], exec, -1
; %bb.725:
	s_or_b64 exec, exec, s[4:5]
	s_and_b64 s[0:1], s[0:1], exec
                                        ; implicit-def: $vgpr139
	s_or_saveexec_b64 s[2:3], s[2:3]
	v_mov_b32_e32 v138, s7
	s_xor_b64 exec, exec, s[2:3]
	s_cbranch_execz .LBB8_212
.LBB8_726:
	v_cmp_ne_u16_e32 vcc, 0, v139
	s_andn2_b64 s[0:1], s[0:1], exec
	s_and_b64 s[4:5], vcc, exec
	v_mov_b32_e32 v138, 0
	s_or_b64 s[0:1], s[0:1], s[4:5]
	s_or_b64 exec, exec, s[2:3]
	s_and_saveexec_b64 s[2:3], s[0:1]
	s_cbranch_execnz .LBB8_213
	s_branch .LBB8_214
.LBB8_727:
	s_movk_i32 s0, 0x80
	v_cmp_eq_u16_e32 vcc, s0, v140
	s_mov_b64 s[0:1], -1
                                        ; implicit-def: $sgpr7
	s_and_saveexec_b64 s[4:5], vcc
; %bb.728:
	s_mov_b32 s7, 0x7f800001
	s_xor_b64 s[0:1], exec, -1
; %bb.729:
	s_or_b64 exec, exec, s[4:5]
	s_and_b64 s[0:1], s[0:1], exec
                                        ; implicit-def: $vgpr140
	s_or_saveexec_b64 s[2:3], s[2:3]
	v_mov_b32_e32 v139, s7
	s_xor_b64 exec, exec, s[2:3]
	s_cbranch_execz .LBB8_216
.LBB8_730:
	v_cmp_ne_u16_e32 vcc, 0, v140
	s_andn2_b64 s[0:1], s[0:1], exec
	s_and_b64 s[4:5], vcc, exec
	v_mov_b32_e32 v139, 0
	s_or_b64 s[0:1], s[0:1], s[4:5]
	s_or_b64 exec, exec, s[2:3]
	s_and_saveexec_b64 s[2:3], s[0:1]
	s_cbranch_execnz .LBB8_217
	s_branch .LBB8_218
.LBB8_731:
	s_movk_i32 s0, 0x80
	v_cmp_eq_u16_sdwa s[10:11], v83, s0 src0_sel:BYTE_0 src1_sel:DWORD
	s_mov_b64 s[0:1], -1
                                        ; implicit-def: $sgpr7
	s_and_saveexec_b64 s[4:5], s[10:11]
; %bb.732:
	s_mov_b32 s7, 0x7f800001
	s_xor_b64 s[0:1], exec, -1
; %bb.733:
	s_or_b64 exec, exec, s[4:5]
	s_and_b64 s[0:1], s[0:1], exec
	s_or_saveexec_b64 s[2:3], s[2:3]
	v_mov_b32_e32 v140, s7
	s_xor_b64 exec, exec, s[2:3]
	s_cbranch_execz .LBB8_220
.LBB8_734:
	v_mov_b32_e32 v140, 0
	v_cmp_ne_u16_sdwa s[4:5], v83, v140 src0_sel:BYTE_0 src1_sel:DWORD
	s_andn2_b64 s[0:1], s[0:1], exec
	s_and_b64 s[4:5], s[4:5], exec
	s_or_b64 s[0:1], s[0:1], s[4:5]
	s_or_b64 exec, exec, s[2:3]
	s_and_saveexec_b64 s[2:3], s[0:1]
	s_cbranch_execnz .LBB8_221
	s_branch .LBB8_222
.LBB8_735:
	s_movk_i32 s0, 0x80
	v_cmp_eq_u16_sdwa s[10:11], v83, s0 src0_sel:BYTE_1 src1_sel:DWORD
	s_mov_b64 s[0:1], -1
                                        ; implicit-def: $sgpr7
	s_and_saveexec_b64 s[4:5], s[10:11]
; %bb.736:
	s_mov_b32 s7, 0x7f800001
	s_xor_b64 s[0:1], exec, -1
; %bb.737:
	s_or_b64 exec, exec, s[4:5]
	s_and_b64 s[0:1], s[0:1], exec
	s_or_saveexec_b64 s[2:3], s[2:3]
	v_mov_b32_e32 v141, s7
	s_xor_b64 exec, exec, s[2:3]
	s_cbranch_execz .LBB8_224
.LBB8_738:
	v_mov_b32_e32 v141, 0
	v_cmp_ne_u16_sdwa s[4:5], v83, v141 src0_sel:BYTE_1 src1_sel:DWORD
	s_andn2_b64 s[0:1], s[0:1], exec
	s_and_b64 s[4:5], s[4:5], exec
	s_or_b64 s[0:1], s[0:1], s[4:5]
	s_or_b64 exec, exec, s[2:3]
	s_and_saveexec_b64 s[2:3], s[0:1]
	s_cbranch_execnz .LBB8_225
	s_branch .LBB8_226
.LBB8_739:
	s_movk_i32 s0, 0x80
	v_cmp_eq_u16_e32 vcc, s0, v82
	s_mov_b64 s[0:1], -1
                                        ; implicit-def: $sgpr7
	s_and_saveexec_b64 s[4:5], vcc
; %bb.740:
	s_mov_b32 s7, 0x7f800001
	s_xor_b64 s[0:1], exec, -1
; %bb.741:
	s_or_b64 exec, exec, s[4:5]
	s_and_b64 s[0:1], s[0:1], exec
                                        ; implicit-def: $vgpr82
	s_or_saveexec_b64 s[2:3], s[2:3]
	v_mov_b32_e32 v142, s7
	s_xor_b64 exec, exec, s[2:3]
	s_cbranch_execz .LBB8_228
.LBB8_742:
	v_cmp_ne_u16_e32 vcc, 0, v82
	s_andn2_b64 s[0:1], s[0:1], exec
	s_and_b64 s[4:5], vcc, exec
	v_mov_b32_e32 v142, 0
	s_or_b64 s[0:1], s[0:1], s[4:5]
	s_or_b64 exec, exec, s[2:3]
	s_and_saveexec_b64 s[2:3], s[0:1]
	s_cbranch_execnz .LBB8_229
	s_branch .LBB8_230
.LBB8_743:
	s_movk_i32 s0, 0x80
	v_cmp_eq_u16_e32 vcc, s0, v82
	s_mov_b64 s[0:1], -1
                                        ; implicit-def: $sgpr7
	s_and_saveexec_b64 s[4:5], vcc
; %bb.744:
	s_mov_b32 s7, 0x7f800001
	s_xor_b64 s[0:1], exec, -1
; %bb.745:
	s_or_b64 exec, exec, s[4:5]
	s_and_b64 s[0:1], s[0:1], exec
                                        ; implicit-def: $vgpr82
	s_or_saveexec_b64 s[2:3], s[2:3]
	v_mov_b32_e32 v143, s7
	s_xor_b64 exec, exec, s[2:3]
	s_cbranch_execz .LBB8_232
.LBB8_746:
	v_cmp_ne_u16_e32 vcc, 0, v82
	s_andn2_b64 s[0:1], s[0:1], exec
	s_and_b64 s[4:5], vcc, exec
	v_mov_b32_e32 v143, 0
	s_or_b64 s[0:1], s[0:1], s[4:5]
	s_or_b64 exec, exec, s[2:3]
	s_and_saveexec_b64 s[2:3], s[0:1]
	s_cbranch_execnz .LBB8_233
	s_branch .LBB8_234
.LBB8_747:
	s_movk_i32 s0, 0x80
	v_cmp_eq_u16_sdwa s[10:11], v84, s0 src0_sel:BYTE_0 src1_sel:DWORD
	s_mov_b64 s[0:1], -1
                                        ; implicit-def: $sgpr7
	s_and_saveexec_b64 s[4:5], s[10:11]
; %bb.748:
	s_mov_b32 s7, 0x7f800001
	s_xor_b64 s[0:1], exec, -1
; %bb.749:
	s_or_b64 exec, exec, s[4:5]
	s_and_b64 s[0:1], s[0:1], exec
	s_or_saveexec_b64 s[2:3], s[2:3]
	v_mov_b32_e32 v144, s7
	s_xor_b64 exec, exec, s[2:3]
	s_cbranch_execz .LBB8_236
.LBB8_750:
	v_mov_b32_e32 v144, 0
	v_cmp_ne_u16_sdwa s[4:5], v84, v144 src0_sel:BYTE_0 src1_sel:DWORD
	s_andn2_b64 s[0:1], s[0:1], exec
	s_and_b64 s[4:5], s[4:5], exec
	s_or_b64 s[0:1], s[0:1], s[4:5]
	s_or_b64 exec, exec, s[2:3]
	s_and_saveexec_b64 s[2:3], s[0:1]
	s_cbranch_execnz .LBB8_237
	s_branch .LBB8_238
.LBB8_751:
	s_movk_i32 s0, 0x80
	v_cmp_eq_u16_sdwa s[10:11], v84, s0 src0_sel:BYTE_1 src1_sel:DWORD
	s_mov_b64 s[0:1], -1
                                        ; implicit-def: $sgpr7
	s_and_saveexec_b64 s[4:5], s[10:11]
; %bb.752:
	s_mov_b32 s7, 0x7f800001
	s_xor_b64 s[0:1], exec, -1
; %bb.753:
	s_or_b64 exec, exec, s[4:5]
	s_and_b64 s[0:1], s[0:1], exec
	s_or_saveexec_b64 s[2:3], s[2:3]
	v_mov_b32_e32 v145, s7
	s_xor_b64 exec, exec, s[2:3]
	s_cbranch_execz .LBB8_240
.LBB8_754:
	v_mov_b32_e32 v145, 0
	v_cmp_ne_u16_sdwa s[4:5], v84, v145 src0_sel:BYTE_1 src1_sel:DWORD
	s_andn2_b64 s[0:1], s[0:1], exec
	s_and_b64 s[4:5], s[4:5], exec
	s_or_b64 s[0:1], s[0:1], s[4:5]
	s_or_b64 exec, exec, s[2:3]
	s_and_saveexec_b64 s[2:3], s[0:1]
	s_cbranch_execnz .LBB8_241
	s_branch .LBB8_242
.LBB8_755:
	s_movk_i32 s0, 0x80
	v_cmp_eq_u16_e32 vcc, s0, v82
	s_mov_b64 s[0:1], -1
                                        ; implicit-def: $sgpr7
	s_and_saveexec_b64 s[4:5], vcc
; %bb.756:
	s_mov_b32 s7, 0x7f800001
	s_xor_b64 s[0:1], exec, -1
; %bb.757:
	s_or_b64 exec, exec, s[4:5]
	s_and_b64 s[0:1], s[0:1], exec
                                        ; implicit-def: $vgpr82
	s_or_saveexec_b64 s[2:3], s[2:3]
	v_mov_b32_e32 v146, s7
	s_xor_b64 exec, exec, s[2:3]
	s_cbranch_execz .LBB8_244
.LBB8_758:
	v_cmp_ne_u16_e32 vcc, 0, v82
	s_andn2_b64 s[0:1], s[0:1], exec
	s_and_b64 s[4:5], vcc, exec
	v_mov_b32_e32 v146, 0
	s_or_b64 s[0:1], s[0:1], s[4:5]
	s_or_b64 exec, exec, s[2:3]
	s_and_saveexec_b64 s[2:3], s[0:1]
	s_cbranch_execnz .LBB8_245
	s_branch .LBB8_246
.LBB8_759:
	s_movk_i32 s0, 0x80
	v_cmp_eq_u16_e32 vcc, s0, v82
	s_mov_b64 s[0:1], -1
                                        ; implicit-def: $sgpr7
	s_and_saveexec_b64 s[4:5], vcc
; %bb.760:
	s_mov_b32 s7, 0x7f800001
	s_xor_b64 s[0:1], exec, -1
; %bb.761:
	s_or_b64 exec, exec, s[4:5]
	s_and_b64 s[0:1], s[0:1], exec
                                        ; implicit-def: $vgpr82
	s_or_saveexec_b64 s[2:3], s[2:3]
	v_mov_b32_e32 v147, s7
	s_xor_b64 exec, exec, s[2:3]
	s_cbranch_execz .LBB8_248
.LBB8_762:
	v_cmp_ne_u16_e32 vcc, 0, v82
	s_andn2_b64 s[0:1], s[0:1], exec
	s_and_b64 s[4:5], vcc, exec
	v_mov_b32_e32 v147, 0
	s_or_b64 s[0:1], s[0:1], s[4:5]
	s_or_b64 exec, exec, s[2:3]
	s_and_saveexec_b64 s[2:3], s[0:1]
	s_cbranch_execnz .LBB8_249
	s_branch .LBB8_250
.LBB8_763:
	s_movk_i32 s0, 0x80
	v_cmp_eq_u16_sdwa s[10:11], v85, s0 src0_sel:BYTE_0 src1_sel:DWORD
	s_mov_b64 s[0:1], -1
                                        ; implicit-def: $sgpr7
	s_and_saveexec_b64 s[4:5], s[10:11]
; %bb.764:
	s_mov_b32 s7, 0x7f800001
	s_xor_b64 s[0:1], exec, -1
; %bb.765:
	s_or_b64 exec, exec, s[4:5]
	s_and_b64 s[0:1], s[0:1], exec
	s_or_saveexec_b64 s[2:3], s[2:3]
	v_mov_b32_e32 v148, s7
	s_xor_b64 exec, exec, s[2:3]
	s_cbranch_execz .LBB8_252
.LBB8_766:
	v_mov_b32_e32 v148, 0
	v_cmp_ne_u16_sdwa s[4:5], v85, v148 src0_sel:BYTE_0 src1_sel:DWORD
	s_andn2_b64 s[0:1], s[0:1], exec
	s_and_b64 s[4:5], s[4:5], exec
	s_or_b64 s[0:1], s[0:1], s[4:5]
	s_or_b64 exec, exec, s[2:3]
	s_and_saveexec_b64 s[2:3], s[0:1]
	s_cbranch_execnz .LBB8_253
	s_branch .LBB8_254
.LBB8_767:
	s_movk_i32 s0, 0x80
	v_cmp_eq_u16_sdwa s[10:11], v85, s0 src0_sel:BYTE_1 src1_sel:DWORD
	s_mov_b64 s[0:1], -1
                                        ; implicit-def: $sgpr7
	s_and_saveexec_b64 s[4:5], s[10:11]
; %bb.768:
	s_mov_b32 s7, 0x7f800001
	s_xor_b64 s[0:1], exec, -1
; %bb.769:
	s_or_b64 exec, exec, s[4:5]
	s_and_b64 s[0:1], s[0:1], exec
	s_or_saveexec_b64 s[2:3], s[2:3]
	v_mov_b32_e32 v149, s7
	s_xor_b64 exec, exec, s[2:3]
	s_cbranch_execz .LBB8_256
.LBB8_770:
	v_mov_b32_e32 v149, 0
	v_cmp_ne_u16_sdwa s[4:5], v85, v149 src0_sel:BYTE_1 src1_sel:DWORD
	s_andn2_b64 s[0:1], s[0:1], exec
	s_and_b64 s[4:5], s[4:5], exec
	s_or_b64 s[0:1], s[0:1], s[4:5]
	s_or_b64 exec, exec, s[2:3]
	s_and_saveexec_b64 s[2:3], s[0:1]
	s_cbranch_execnz .LBB8_257
	s_branch .LBB8_258
.LBB8_771:
	s_movk_i32 s0, 0x80
	v_cmp_eq_u16_e32 vcc, s0, v82
	s_mov_b64 s[0:1], -1
                                        ; implicit-def: $sgpr7
	s_and_saveexec_b64 s[4:5], vcc
; %bb.772:
	s_mov_b32 s7, 0x7f800001
	s_xor_b64 s[0:1], exec, -1
; %bb.773:
	s_or_b64 exec, exec, s[4:5]
	s_and_b64 s[0:1], s[0:1], exec
                                        ; implicit-def: $vgpr82
	s_or_saveexec_b64 s[2:3], s[2:3]
	v_mov_b32_e32 v150, s7
	s_xor_b64 exec, exec, s[2:3]
	s_cbranch_execz .LBB8_260
.LBB8_774:
	v_cmp_ne_u16_e32 vcc, 0, v82
	s_andn2_b64 s[0:1], s[0:1], exec
	s_and_b64 s[4:5], vcc, exec
	v_mov_b32_e32 v150, 0
	s_or_b64 s[0:1], s[0:1], s[4:5]
	s_or_b64 exec, exec, s[2:3]
	s_and_saveexec_b64 s[2:3], s[0:1]
	s_cbranch_execnz .LBB8_261
	s_branch .LBB8_262
.LBB8_775:
	s_movk_i32 s0, 0x80
	v_cmp_eq_u16_e32 vcc, s0, v82
	s_mov_b64 s[0:1], -1
                                        ; implicit-def: $sgpr7
	s_and_saveexec_b64 s[4:5], vcc
; %bb.776:
	s_mov_b32 s7, 0x7f800001
	s_xor_b64 s[0:1], exec, -1
; %bb.777:
	s_or_b64 exec, exec, s[4:5]
	s_and_b64 s[0:1], s[0:1], exec
                                        ; implicit-def: $vgpr82
	s_or_saveexec_b64 s[2:3], s[2:3]
	v_mov_b32_e32 v151, s7
	s_xor_b64 exec, exec, s[2:3]
	s_cbranch_execz .LBB8_264
.LBB8_778:
	v_cmp_ne_u16_e32 vcc, 0, v82
	s_andn2_b64 s[0:1], s[0:1], exec
	s_and_b64 s[4:5], vcc, exec
	v_mov_b32_e32 v151, 0
	s_or_b64 s[0:1], s[0:1], s[4:5]
	s_or_b64 exec, exec, s[2:3]
	s_and_saveexec_b64 s[2:3], s[0:1]
	s_cbranch_execnz .LBB8_265
	s_branch .LBB8_266
.LBB8_779:
	s_movk_i32 s0, 0x80
	v_cmp_eq_u16_sdwa s[10:11], v78, s0 src0_sel:BYTE_0 src1_sel:DWORD
	s_mov_b64 s[0:1], -1
                                        ; implicit-def: $sgpr7
	s_and_saveexec_b64 s[4:5], s[10:11]
; %bb.780:
	s_mov_b32 s7, 0x7f800001
	s_xor_b64 s[0:1], exec, -1
; %bb.781:
	s_or_b64 exec, exec, s[4:5]
	s_and_b64 s[0:1], s[0:1], exec
	s_or_saveexec_b64 s[2:3], s[2:3]
	v_mov_b32_e32 v152, s7
	s_xor_b64 exec, exec, s[2:3]
	s_cbranch_execz .LBB8_268
.LBB8_782:
	v_mov_b32_e32 v152, 0
	v_cmp_ne_u16_sdwa s[4:5], v78, v152 src0_sel:BYTE_0 src1_sel:DWORD
	s_andn2_b64 s[0:1], s[0:1], exec
	s_and_b64 s[4:5], s[4:5], exec
	s_or_b64 s[0:1], s[0:1], s[4:5]
	s_or_b64 exec, exec, s[2:3]
	s_and_saveexec_b64 s[2:3], s[0:1]
	s_cbranch_execnz .LBB8_269
	s_branch .LBB8_270
.LBB8_783:
	s_movk_i32 s0, 0x80
	v_cmp_eq_u16_sdwa s[10:11], v78, s0 src0_sel:BYTE_1 src1_sel:DWORD
	s_mov_b64 s[0:1], -1
                                        ; implicit-def: $sgpr7
	s_and_saveexec_b64 s[4:5], s[10:11]
; %bb.784:
	s_mov_b32 s7, 0x7f800001
	s_xor_b64 s[0:1], exec, -1
; %bb.785:
	s_or_b64 exec, exec, s[4:5]
	s_and_b64 s[0:1], s[0:1], exec
	s_or_saveexec_b64 s[2:3], s[2:3]
	v_mov_b32_e32 v153, s7
	s_xor_b64 exec, exec, s[2:3]
	s_cbranch_execz .LBB8_272
.LBB8_786:
	v_mov_b32_e32 v153, 0
	v_cmp_ne_u16_sdwa s[4:5], v78, v153 src0_sel:BYTE_1 src1_sel:DWORD
	s_andn2_b64 s[0:1], s[0:1], exec
	s_and_b64 s[4:5], s[4:5], exec
	s_or_b64 s[0:1], s[0:1], s[4:5]
	s_or_b64 exec, exec, s[2:3]
	s_and_saveexec_b64 s[2:3], s[0:1]
	s_cbranch_execnz .LBB8_273
	s_branch .LBB8_274
.LBB8_787:
	s_movk_i32 s0, 0x80
	v_cmp_eq_u16_e32 vcc, s0, v82
	s_mov_b64 s[0:1], -1
                                        ; implicit-def: $sgpr7
	s_and_saveexec_b64 s[4:5], vcc
; %bb.788:
	s_mov_b32 s7, 0x7f800001
	s_xor_b64 s[0:1], exec, -1
; %bb.789:
	s_or_b64 exec, exec, s[4:5]
	s_and_b64 s[0:1], s[0:1], exec
                                        ; implicit-def: $vgpr82
	s_or_saveexec_b64 s[2:3], s[2:3]
	v_mov_b32_e32 v154, s7
	s_xor_b64 exec, exec, s[2:3]
	s_cbranch_execz .LBB8_276
.LBB8_790:
	v_cmp_ne_u16_e32 vcc, 0, v82
	s_andn2_b64 s[0:1], s[0:1], exec
	s_and_b64 s[4:5], vcc, exec
	v_mov_b32_e32 v154, 0
	s_or_b64 s[0:1], s[0:1], s[4:5]
	s_or_b64 exec, exec, s[2:3]
	s_and_saveexec_b64 s[2:3], s[0:1]
	s_cbranch_execnz .LBB8_277
	s_branch .LBB8_278
.LBB8_791:
	s_movk_i32 s0, 0x80
	v_cmp_eq_u16_e32 vcc, s0, v82
	s_mov_b64 s[0:1], -1
                                        ; implicit-def: $sgpr7
	s_and_saveexec_b64 s[4:5], vcc
; %bb.792:
	s_mov_b32 s7, 0x7f800001
	s_xor_b64 s[0:1], exec, -1
; %bb.793:
	s_or_b64 exec, exec, s[4:5]
	s_and_b64 s[0:1], s[0:1], exec
                                        ; implicit-def: $vgpr82
	s_or_saveexec_b64 s[2:3], s[2:3]
	v_mov_b32_e32 v155, s7
	s_xor_b64 exec, exec, s[2:3]
	s_cbranch_execz .LBB8_280
.LBB8_794:
	v_cmp_ne_u16_e32 vcc, 0, v82
	s_andn2_b64 s[0:1], s[0:1], exec
	s_and_b64 s[4:5], vcc, exec
	v_mov_b32_e32 v155, 0
	s_or_b64 s[0:1], s[0:1], s[4:5]
	s_or_b64 exec, exec, s[2:3]
	s_and_saveexec_b64 s[2:3], s[0:1]
	s_cbranch_execnz .LBB8_281
	s_branch .LBB8_282
.LBB8_795:
	s_movk_i32 s0, 0x80
	v_cmp_eq_u16_sdwa s[10:11], v79, s0 src0_sel:BYTE_0 src1_sel:DWORD
	s_mov_b64 s[0:1], -1
                                        ; implicit-def: $sgpr7
	s_and_saveexec_b64 s[4:5], s[10:11]
; %bb.796:
	s_mov_b32 s7, 0x7f800001
	s_xor_b64 s[0:1], exec, -1
; %bb.797:
	s_or_b64 exec, exec, s[4:5]
	s_and_b64 s[0:1], s[0:1], exec
	s_or_saveexec_b64 s[2:3], s[2:3]
	v_mov_b32_e32 v78, s7
	s_xor_b64 exec, exec, s[2:3]
	s_cbranch_execz .LBB8_284
.LBB8_798:
	v_mov_b32_e32 v78, 0
	v_cmp_ne_u16_sdwa s[4:5], v79, v78 src0_sel:BYTE_0 src1_sel:DWORD
	s_andn2_b64 s[0:1], s[0:1], exec
	s_and_b64 s[4:5], s[4:5], exec
	s_or_b64 s[0:1], s[0:1], s[4:5]
	s_or_b64 exec, exec, s[2:3]
	s_and_saveexec_b64 s[2:3], s[0:1]
	s_cbranch_execnz .LBB8_285
	s_branch .LBB8_286
.LBB8_799:
	s_movk_i32 s0, 0x80
	v_cmp_eq_u16_sdwa s[10:11], v79, s0 src0_sel:BYTE_1 src1_sel:DWORD
	s_mov_b64 s[0:1], -1
                                        ; implicit-def: $sgpr7
	s_and_saveexec_b64 s[4:5], s[10:11]
; %bb.800:
	s_mov_b32 s7, 0x7f800001
	s_xor_b64 s[0:1], exec, -1
; %bb.801:
	s_or_b64 exec, exec, s[4:5]
	s_and_b64 s[0:1], s[0:1], exec
	s_or_saveexec_b64 s[2:3], s[2:3]
	v_mov_b32_e32 v156, s7
	s_xor_b64 exec, exec, s[2:3]
	s_cbranch_execz .LBB8_288
.LBB8_802:
	v_mov_b32_e32 v156, 0
	v_cmp_ne_u16_sdwa s[4:5], v79, v156 src0_sel:BYTE_1 src1_sel:DWORD
	s_andn2_b64 s[0:1], s[0:1], exec
	s_and_b64 s[4:5], s[4:5], exec
	s_or_b64 s[0:1], s[0:1], s[4:5]
	s_or_b64 exec, exec, s[2:3]
	s_and_saveexec_b64 s[2:3], s[0:1]
	s_cbranch_execnz .LBB8_289
	s_branch .LBB8_290
.LBB8_803:
	s_movk_i32 s0, 0x80
	v_cmp_eq_u16_e32 vcc, s0, v82
	s_mov_b64 s[0:1], -1
                                        ; implicit-def: $sgpr7
	s_and_saveexec_b64 s[4:5], vcc
; %bb.804:
	s_mov_b32 s7, 0x7f800001
	s_xor_b64 s[0:1], exec, -1
; %bb.805:
	s_or_b64 exec, exec, s[4:5]
	s_and_b64 s[0:1], s[0:1], exec
                                        ; implicit-def: $vgpr82
	s_or_saveexec_b64 s[2:3], s[2:3]
	v_mov_b32_e32 v157, s7
	s_xor_b64 exec, exec, s[2:3]
	s_cbranch_execz .LBB8_292
.LBB8_806:
	v_cmp_ne_u16_e32 vcc, 0, v82
	s_andn2_b64 s[0:1], s[0:1], exec
	s_and_b64 s[4:5], vcc, exec
	v_mov_b32_e32 v157, 0
	s_or_b64 s[0:1], s[0:1], s[4:5]
	s_or_b64 exec, exec, s[2:3]
	s_and_saveexec_b64 s[2:3], s[0:1]
	s_cbranch_execnz .LBB8_293
	s_branch .LBB8_294
.LBB8_807:
	s_movk_i32 s0, 0x80
	v_cmp_eq_u16_e32 vcc, s0, v82
	s_mov_b64 s[0:1], -1
                                        ; implicit-def: $sgpr7
	s_and_saveexec_b64 s[4:5], vcc
; %bb.808:
	s_mov_b32 s7, 0x7f800001
	s_xor_b64 s[0:1], exec, -1
; %bb.809:
	s_or_b64 exec, exec, s[4:5]
	s_and_b64 s[0:1], s[0:1], exec
                                        ; implicit-def: $vgpr82
	s_or_saveexec_b64 s[2:3], s[2:3]
	v_mov_b32_e32 v158, s7
	s_xor_b64 exec, exec, s[2:3]
	s_cbranch_execz .LBB8_296
.LBB8_810:
	v_cmp_ne_u16_e32 vcc, 0, v82
	s_andn2_b64 s[0:1], s[0:1], exec
	s_and_b64 s[4:5], vcc, exec
	v_mov_b32_e32 v158, 0
	s_or_b64 s[0:1], s[0:1], s[4:5]
	s_or_b64 exec, exec, s[2:3]
	s_and_saveexec_b64 s[2:3], s[0:1]
	s_cbranch_execnz .LBB8_297
	s_branch .LBB8_298
.LBB8_811:
	s_movk_i32 s0, 0x80
	v_cmp_eq_u16_sdwa s[10:11], v80, s0 src0_sel:BYTE_0 src1_sel:DWORD
	s_mov_b64 s[0:1], -1
                                        ; implicit-def: $sgpr7
	s_and_saveexec_b64 s[4:5], s[10:11]
; %bb.812:
	s_mov_b32 s7, 0x7f800001
	s_xor_b64 s[0:1], exec, -1
; %bb.813:
	s_or_b64 exec, exec, s[4:5]
	s_and_b64 s[0:1], s[0:1], exec
	s_or_saveexec_b64 s[2:3], s[2:3]
	v_mov_b32_e32 v79, s7
	s_xor_b64 exec, exec, s[2:3]
	s_cbranch_execz .LBB8_300
.LBB8_814:
	v_mov_b32_e32 v79, 0
	v_cmp_ne_u16_sdwa s[4:5], v80, v79 src0_sel:BYTE_0 src1_sel:DWORD
	s_andn2_b64 s[0:1], s[0:1], exec
	s_and_b64 s[4:5], s[4:5], exec
	s_or_b64 s[0:1], s[0:1], s[4:5]
	s_or_b64 exec, exec, s[2:3]
	s_and_saveexec_b64 s[2:3], s[0:1]
	s_cbranch_execnz .LBB8_301
	s_branch .LBB8_302
.LBB8_815:
	s_movk_i32 s0, 0x80
	v_cmp_eq_u16_sdwa s[10:11], v80, s0 src0_sel:BYTE_1 src1_sel:DWORD
	s_mov_b64 s[0:1], -1
                                        ; implicit-def: $sgpr7
	s_and_saveexec_b64 s[4:5], s[10:11]
; %bb.816:
	s_mov_b32 s7, 0x7f800001
	s_xor_b64 s[0:1], exec, -1
; %bb.817:
	s_or_b64 exec, exec, s[4:5]
	s_and_b64 s[0:1], s[0:1], exec
	s_or_saveexec_b64 s[2:3], s[2:3]
	v_mov_b32_e32 v159, s7
	s_xor_b64 exec, exec, s[2:3]
	s_cbranch_execz .LBB8_304
.LBB8_818:
	v_mov_b32_e32 v159, 0
	v_cmp_ne_u16_sdwa s[4:5], v80, v159 src0_sel:BYTE_1 src1_sel:DWORD
	s_andn2_b64 s[0:1], s[0:1], exec
	s_and_b64 s[4:5], s[4:5], exec
	s_or_b64 s[0:1], s[0:1], s[4:5]
	s_or_b64 exec, exec, s[2:3]
	s_and_saveexec_b64 s[2:3], s[0:1]
	s_cbranch_execnz .LBB8_305
	s_branch .LBB8_306
.LBB8_819:
	s_movk_i32 s0, 0x80
	v_cmp_eq_u16_e32 vcc, s0, v82
	s_mov_b64 s[0:1], -1
                                        ; implicit-def: $sgpr7
	s_and_saveexec_b64 s[4:5], vcc
; %bb.820:
	s_mov_b32 s7, 0x7f800001
	s_xor_b64 s[0:1], exec, -1
; %bb.821:
	s_or_b64 exec, exec, s[4:5]
	s_and_b64 s[0:1], s[0:1], exec
                                        ; implicit-def: $vgpr82
	s_or_saveexec_b64 s[2:3], s[2:3]
	v_mov_b32_e32 v160, s7
	s_xor_b64 exec, exec, s[2:3]
	s_cbranch_execz .LBB8_308
.LBB8_822:
	v_cmp_ne_u16_e32 vcc, 0, v82
	s_andn2_b64 s[0:1], s[0:1], exec
	s_and_b64 s[4:5], vcc, exec
	v_mov_b32_e32 v160, 0
	s_or_b64 s[0:1], s[0:1], s[4:5]
	s_or_b64 exec, exec, s[2:3]
	s_and_saveexec_b64 s[2:3], s[0:1]
	s_cbranch_execnz .LBB8_309
	s_branch .LBB8_310
.LBB8_823:
	s_movk_i32 s0, 0x80
	v_cmp_eq_u16_e32 vcc, s0, v82
	s_mov_b64 s[0:1], -1
                                        ; implicit-def: $sgpr7
	s_and_saveexec_b64 s[4:5], vcc
; %bb.824:
	s_mov_b32 s7, 0x7f800001
	s_xor_b64 s[0:1], exec, -1
; %bb.825:
	s_or_b64 exec, exec, s[4:5]
	s_and_b64 s[0:1], s[0:1], exec
                                        ; implicit-def: $vgpr82
	s_or_saveexec_b64 s[2:3], s[2:3]
	v_mov_b32_e32 v161, s7
	s_xor_b64 exec, exec, s[2:3]
	s_cbranch_execz .LBB8_312
.LBB8_826:
	v_cmp_ne_u16_e32 vcc, 0, v82
	s_andn2_b64 s[0:1], s[0:1], exec
	s_and_b64 s[4:5], vcc, exec
	v_mov_b32_e32 v161, 0
	s_or_b64 s[0:1], s[0:1], s[4:5]
	s_or_b64 exec, exec, s[2:3]
	s_and_saveexec_b64 s[2:3], s[0:1]
	s_cbranch_execnz .LBB8_313
	s_branch .LBB8_314
.LBB8_827:
	s_movk_i32 s0, 0x80
	v_cmp_eq_u16_sdwa s[10:11], v81, s0 src0_sel:BYTE_0 src1_sel:DWORD
	s_mov_b64 s[0:1], -1
                                        ; implicit-def: $sgpr7
	s_and_saveexec_b64 s[4:5], s[10:11]
; %bb.828:
	s_mov_b32 s7, 0x7f800001
	s_xor_b64 s[0:1], exec, -1
; %bb.829:
	s_or_b64 exec, exec, s[4:5]
	s_and_b64 s[0:1], s[0:1], exec
	s_or_saveexec_b64 s[2:3], s[2:3]
	v_mov_b32_e32 v80, s7
	s_xor_b64 exec, exec, s[2:3]
	s_cbranch_execz .LBB8_316
.LBB8_830:
	v_mov_b32_e32 v80, 0
	v_cmp_ne_u16_sdwa s[4:5], v81, v80 src0_sel:BYTE_0 src1_sel:DWORD
	s_andn2_b64 s[0:1], s[0:1], exec
	s_and_b64 s[4:5], s[4:5], exec
	s_or_b64 s[0:1], s[0:1], s[4:5]
	s_or_b64 exec, exec, s[2:3]
	s_and_saveexec_b64 s[2:3], s[0:1]
	s_cbranch_execnz .LBB8_317
	s_branch .LBB8_318
.LBB8_831:
	s_movk_i32 s0, 0x80
	v_cmp_eq_u16_sdwa s[10:11], v81, s0 src0_sel:BYTE_1 src1_sel:DWORD
	s_mov_b64 s[0:1], -1
                                        ; implicit-def: $sgpr7
	s_and_saveexec_b64 s[4:5], s[10:11]
; %bb.832:
	s_mov_b32 s7, 0x7f800001
	s_xor_b64 s[0:1], exec, -1
; %bb.833:
	s_or_b64 exec, exec, s[4:5]
	s_and_b64 s[0:1], s[0:1], exec
	s_or_saveexec_b64 s[2:3], s[2:3]
	v_mov_b32_e32 v162, s7
	s_xor_b64 exec, exec, s[2:3]
	s_cbranch_execz .LBB8_320
.LBB8_834:
	v_mov_b32_e32 v162, 0
	v_cmp_ne_u16_sdwa s[4:5], v81, v162 src0_sel:BYTE_1 src1_sel:DWORD
	s_andn2_b64 s[0:1], s[0:1], exec
	s_and_b64 s[4:5], s[4:5], exec
	s_or_b64 s[0:1], s[0:1], s[4:5]
	s_or_b64 exec, exec, s[2:3]
	s_and_saveexec_b64 s[2:3], s[0:1]
	s_cbranch_execnz .LBB8_321
	s_branch .LBB8_322
.LBB8_835:
	s_movk_i32 s0, 0x80
	v_cmp_eq_u16_e32 vcc, s0, v82
	s_mov_b64 s[0:1], -1
                                        ; implicit-def: $sgpr7
	s_and_saveexec_b64 s[4:5], vcc
; %bb.836:
	s_mov_b32 s7, 0x7f800001
	s_xor_b64 s[0:1], exec, -1
; %bb.837:
	s_or_b64 exec, exec, s[4:5]
	s_and_b64 s[0:1], s[0:1], exec
                                        ; implicit-def: $vgpr82
	s_or_saveexec_b64 s[2:3], s[2:3]
	v_mov_b32_e32 v163, s7
	s_xor_b64 exec, exec, s[2:3]
	s_cbranch_execz .LBB8_324
.LBB8_838:
	v_cmp_ne_u16_e32 vcc, 0, v82
	s_andn2_b64 s[0:1], s[0:1], exec
	s_and_b64 s[4:5], vcc, exec
	v_mov_b32_e32 v163, 0
	s_or_b64 s[0:1], s[0:1], s[4:5]
	s_or_b64 exec, exec, s[2:3]
	s_and_saveexec_b64 s[2:3], s[0:1]
	s_cbranch_execnz .LBB8_325
	s_branch .LBB8_326
.LBB8_839:
	s_movk_i32 s0, 0x80
	v_cmp_eq_u16_e32 vcc, s0, v82
	s_mov_b64 s[0:1], -1
                                        ; implicit-def: $sgpr7
	s_and_saveexec_b64 s[4:5], vcc
; %bb.840:
	s_mov_b32 s7, 0x7f800001
	s_xor_b64 s[0:1], exec, -1
; %bb.841:
	s_or_b64 exec, exec, s[4:5]
	s_and_b64 s[0:1], s[0:1], exec
                                        ; implicit-def: $vgpr82
	s_or_saveexec_b64 s[2:3], s[2:3]
	v_mov_b32_e32 v164, s7
	s_xor_b64 exec, exec, s[2:3]
	s_cbranch_execz .LBB8_328
.LBB8_842:
	v_cmp_ne_u16_e32 vcc, 0, v82
	s_andn2_b64 s[0:1], s[0:1], exec
	s_and_b64 s[4:5], vcc, exec
	v_mov_b32_e32 v164, 0
	s_or_b64 s[0:1], s[0:1], s[4:5]
	s_or_b64 exec, exec, s[2:3]
	s_and_saveexec_b64 s[2:3], s[0:1]
	s_cbranch_execnz .LBB8_329
	s_branch .LBB8_330
.LBB8_843:
	s_movk_i32 s0, 0x80
	v_cmp_eq_u16_sdwa s[10:11], v74, s0 src0_sel:BYTE_0 src1_sel:DWORD
	s_mov_b64 s[0:1], -1
                                        ; implicit-def: $sgpr7
	s_and_saveexec_b64 s[4:5], s[10:11]
; %bb.844:
	s_mov_b32 s7, 0x7f800001
	s_xor_b64 s[0:1], exec, -1
; %bb.845:
	s_or_b64 exec, exec, s[4:5]
	s_and_b64 s[0:1], s[0:1], exec
	s_or_saveexec_b64 s[2:3], s[2:3]
	v_mov_b32_e32 v81, s7
	s_xor_b64 exec, exec, s[2:3]
	s_cbranch_execz .LBB8_332
.LBB8_846:
	v_mov_b32_e32 v81, 0
	v_cmp_ne_u16_sdwa s[4:5], v74, v81 src0_sel:BYTE_0 src1_sel:DWORD
	s_andn2_b64 s[0:1], s[0:1], exec
	s_and_b64 s[4:5], s[4:5], exec
	s_or_b64 s[0:1], s[0:1], s[4:5]
	s_or_b64 exec, exec, s[2:3]
	s_and_saveexec_b64 s[2:3], s[0:1]
	s_cbranch_execnz .LBB8_333
	s_branch .LBB8_334
.LBB8_847:
	s_movk_i32 s0, 0x80
	v_cmp_eq_u16_sdwa s[10:11], v74, s0 src0_sel:BYTE_1 src1_sel:DWORD
	s_mov_b64 s[0:1], -1
                                        ; implicit-def: $sgpr7
	s_and_saveexec_b64 s[4:5], s[10:11]
; %bb.848:
	s_mov_b32 s7, 0x7f800001
	s_xor_b64 s[0:1], exec, -1
; %bb.849:
	s_or_b64 exec, exec, s[4:5]
	s_and_b64 s[0:1], s[0:1], exec
	s_or_saveexec_b64 s[2:3], s[2:3]
	v_mov_b32_e32 v165, s7
	s_xor_b64 exec, exec, s[2:3]
	s_cbranch_execz .LBB8_336
.LBB8_850:
	v_mov_b32_e32 v165, 0
	v_cmp_ne_u16_sdwa s[4:5], v74, v165 src0_sel:BYTE_1 src1_sel:DWORD
	s_andn2_b64 s[0:1], s[0:1], exec
	s_and_b64 s[4:5], s[4:5], exec
	s_or_b64 s[0:1], s[0:1], s[4:5]
	s_or_b64 exec, exec, s[2:3]
	s_and_saveexec_b64 s[2:3], s[0:1]
	s_cbranch_execnz .LBB8_337
	s_branch .LBB8_338
.LBB8_851:
	s_movk_i32 s0, 0x80
	v_cmp_eq_u16_e32 vcc, s0, v82
	s_mov_b64 s[0:1], -1
                                        ; implicit-def: $sgpr7
	s_and_saveexec_b64 s[4:5], vcc
; %bb.852:
	s_mov_b32 s7, 0x7f800001
	s_xor_b64 s[0:1], exec, -1
; %bb.853:
	s_or_b64 exec, exec, s[4:5]
	s_and_b64 s[0:1], s[0:1], exec
                                        ; implicit-def: $vgpr82
	s_or_saveexec_b64 s[2:3], s[2:3]
	v_mov_b32_e32 v166, s7
	s_xor_b64 exec, exec, s[2:3]
	s_cbranch_execz .LBB8_340
.LBB8_854:
	v_cmp_ne_u16_e32 vcc, 0, v82
	s_andn2_b64 s[0:1], s[0:1], exec
	s_and_b64 s[4:5], vcc, exec
	v_mov_b32_e32 v166, 0
	s_or_b64 s[0:1], s[0:1], s[4:5]
	s_or_b64 exec, exec, s[2:3]
	s_and_saveexec_b64 s[2:3], s[0:1]
	s_cbranch_execnz .LBB8_341
	s_branch .LBB8_342
.LBB8_855:
	s_movk_i32 s0, 0x80
	v_cmp_eq_u16_e32 vcc, s0, v82
	s_mov_b64 s[0:1], -1
                                        ; implicit-def: $sgpr7
	s_and_saveexec_b64 s[4:5], vcc
; %bb.856:
	s_mov_b32 s7, 0x7f800001
	s_xor_b64 s[0:1], exec, -1
; %bb.857:
	s_or_b64 exec, exec, s[4:5]
	s_and_b64 s[0:1], s[0:1], exec
                                        ; implicit-def: $vgpr82
	s_or_saveexec_b64 s[2:3], s[2:3]
	v_mov_b32_e32 v167, s7
	s_xor_b64 exec, exec, s[2:3]
	s_cbranch_execz .LBB8_344
.LBB8_858:
	v_cmp_ne_u16_e32 vcc, 0, v82
	s_andn2_b64 s[0:1], s[0:1], exec
	s_and_b64 s[4:5], vcc, exec
	v_mov_b32_e32 v167, 0
	s_or_b64 s[0:1], s[0:1], s[4:5]
	s_or_b64 exec, exec, s[2:3]
	s_and_saveexec_b64 s[2:3], s[0:1]
	s_cbranch_execnz .LBB8_345
	s_branch .LBB8_346
.LBB8_859:
	s_movk_i32 s0, 0x80
	v_cmp_eq_u16_sdwa s[10:11], v75, s0 src0_sel:BYTE_0 src1_sel:DWORD
	s_mov_b64 s[0:1], -1
                                        ; implicit-def: $sgpr7
	s_and_saveexec_b64 s[4:5], s[10:11]
; %bb.860:
	s_mov_b32 s7, 0x7f800001
	s_xor_b64 s[0:1], exec, -1
; %bb.861:
	s_or_b64 exec, exec, s[4:5]
	s_and_b64 s[0:1], s[0:1], exec
	s_or_saveexec_b64 s[2:3], s[2:3]
	v_mov_b32_e32 v74, s7
	s_xor_b64 exec, exec, s[2:3]
	s_cbranch_execz .LBB8_348
.LBB8_862:
	v_mov_b32_e32 v74, 0
	v_cmp_ne_u16_sdwa s[4:5], v75, v74 src0_sel:BYTE_0 src1_sel:DWORD
	s_andn2_b64 s[0:1], s[0:1], exec
	s_and_b64 s[4:5], s[4:5], exec
	s_or_b64 s[0:1], s[0:1], s[4:5]
	s_or_b64 exec, exec, s[2:3]
	s_and_saveexec_b64 s[2:3], s[0:1]
	s_cbranch_execnz .LBB8_349
	s_branch .LBB8_350
.LBB8_863:
	s_movk_i32 s0, 0x80
	v_cmp_eq_u16_sdwa s[10:11], v75, s0 src0_sel:BYTE_1 src1_sel:DWORD
	s_mov_b64 s[0:1], -1
                                        ; implicit-def: $sgpr7
	s_and_saveexec_b64 s[4:5], s[10:11]
; %bb.864:
	s_mov_b32 s7, 0x7f800001
	s_xor_b64 s[0:1], exec, -1
; %bb.865:
	s_or_b64 exec, exec, s[4:5]
	s_and_b64 s[0:1], s[0:1], exec
	s_or_saveexec_b64 s[2:3], s[2:3]
	v_mov_b32_e32 v168, s7
	s_xor_b64 exec, exec, s[2:3]
	s_cbranch_execz .LBB8_352
.LBB8_866:
	v_mov_b32_e32 v168, 0
	v_cmp_ne_u16_sdwa s[4:5], v75, v168 src0_sel:BYTE_1 src1_sel:DWORD
	s_andn2_b64 s[0:1], s[0:1], exec
	s_and_b64 s[4:5], s[4:5], exec
	s_or_b64 s[0:1], s[0:1], s[4:5]
	s_or_b64 exec, exec, s[2:3]
	s_and_saveexec_b64 s[2:3], s[0:1]
	s_cbranch_execnz .LBB8_353
	s_branch .LBB8_354
.LBB8_867:
	s_movk_i32 s0, 0x80
	v_cmp_eq_u16_e32 vcc, s0, v82
	s_mov_b64 s[0:1], -1
                                        ; implicit-def: $sgpr7
	s_and_saveexec_b64 s[4:5], vcc
; %bb.868:
	s_mov_b32 s7, 0x7f800001
	s_xor_b64 s[0:1], exec, -1
; %bb.869:
	s_or_b64 exec, exec, s[4:5]
	s_and_b64 s[0:1], s[0:1], exec
                                        ; implicit-def: $vgpr82
	s_or_saveexec_b64 s[2:3], s[2:3]
	v_mov_b32_e32 v169, s7
	s_xor_b64 exec, exec, s[2:3]
	s_cbranch_execz .LBB8_356
.LBB8_870:
	v_cmp_ne_u16_e32 vcc, 0, v82
	s_andn2_b64 s[0:1], s[0:1], exec
	s_and_b64 s[4:5], vcc, exec
	v_mov_b32_e32 v169, 0
	s_or_b64 s[0:1], s[0:1], s[4:5]
	s_or_b64 exec, exec, s[2:3]
	s_and_saveexec_b64 s[2:3], s[0:1]
	s_cbranch_execnz .LBB8_357
	s_branch .LBB8_358
.LBB8_871:
	s_movk_i32 s0, 0x80
	v_cmp_eq_u16_e32 vcc, s0, v82
	s_mov_b64 s[0:1], -1
                                        ; implicit-def: $sgpr7
	s_and_saveexec_b64 s[4:5], vcc
; %bb.872:
	s_mov_b32 s7, 0x7f800001
	s_xor_b64 s[0:1], exec, -1
; %bb.873:
	s_or_b64 exec, exec, s[4:5]
	s_and_b64 s[0:1], s[0:1], exec
                                        ; implicit-def: $vgpr82
	s_or_saveexec_b64 s[2:3], s[2:3]
	v_mov_b32_e32 v170, s7
	s_xor_b64 exec, exec, s[2:3]
	s_cbranch_execz .LBB8_360
.LBB8_874:
	v_cmp_ne_u16_e32 vcc, 0, v82
	s_andn2_b64 s[0:1], s[0:1], exec
	s_and_b64 s[4:5], vcc, exec
	v_mov_b32_e32 v170, 0
	s_or_b64 s[0:1], s[0:1], s[4:5]
	s_or_b64 exec, exec, s[2:3]
	s_and_saveexec_b64 s[2:3], s[0:1]
	s_cbranch_execnz .LBB8_361
	s_branch .LBB8_362
.LBB8_875:
	s_movk_i32 s0, 0x80
	v_cmp_eq_u16_sdwa s[10:11], v76, s0 src0_sel:BYTE_0 src1_sel:DWORD
	s_mov_b64 s[0:1], -1
                                        ; implicit-def: $sgpr7
	s_and_saveexec_b64 s[4:5], s[10:11]
; %bb.876:
	s_mov_b32 s7, 0x7f800001
	s_xor_b64 s[0:1], exec, -1
; %bb.877:
	s_or_b64 exec, exec, s[4:5]
	s_and_b64 s[0:1], s[0:1], exec
	s_or_saveexec_b64 s[2:3], s[2:3]
	v_mov_b32_e32 v75, s7
	s_xor_b64 exec, exec, s[2:3]
	s_cbranch_execz .LBB8_364
.LBB8_878:
	v_mov_b32_e32 v75, 0
	v_cmp_ne_u16_sdwa s[4:5], v76, v75 src0_sel:BYTE_0 src1_sel:DWORD
	s_andn2_b64 s[0:1], s[0:1], exec
	s_and_b64 s[4:5], s[4:5], exec
	s_or_b64 s[0:1], s[0:1], s[4:5]
	s_or_b64 exec, exec, s[2:3]
	s_and_saveexec_b64 s[2:3], s[0:1]
	s_cbranch_execnz .LBB8_365
	s_branch .LBB8_366
.LBB8_879:
	s_movk_i32 s0, 0x80
	v_cmp_eq_u16_sdwa s[10:11], v76, s0 src0_sel:BYTE_1 src1_sel:DWORD
	s_mov_b64 s[0:1], -1
                                        ; implicit-def: $sgpr7
	s_and_saveexec_b64 s[4:5], s[10:11]
; %bb.880:
	s_mov_b32 s7, 0x7f800001
	s_xor_b64 s[0:1], exec, -1
; %bb.881:
	s_or_b64 exec, exec, s[4:5]
	s_and_b64 s[0:1], s[0:1], exec
	s_or_saveexec_b64 s[2:3], s[2:3]
	v_mov_b32_e32 v171, s7
	s_xor_b64 exec, exec, s[2:3]
	s_cbranch_execz .LBB8_368
.LBB8_882:
	v_mov_b32_e32 v171, 0
	v_cmp_ne_u16_sdwa s[4:5], v76, v171 src0_sel:BYTE_1 src1_sel:DWORD
	s_andn2_b64 s[0:1], s[0:1], exec
	s_and_b64 s[4:5], s[4:5], exec
	s_or_b64 s[0:1], s[0:1], s[4:5]
	s_or_b64 exec, exec, s[2:3]
	s_and_saveexec_b64 s[2:3], s[0:1]
	s_cbranch_execnz .LBB8_369
	s_branch .LBB8_370
.LBB8_883:
	s_movk_i32 s0, 0x80
	v_cmp_eq_u16_e32 vcc, s0, v82
	s_mov_b64 s[0:1], -1
                                        ; implicit-def: $sgpr7
	s_and_saveexec_b64 s[4:5], vcc
; %bb.884:
	s_mov_b32 s7, 0x7f800001
	s_xor_b64 s[0:1], exec, -1
; %bb.885:
	s_or_b64 exec, exec, s[4:5]
	s_and_b64 s[0:1], s[0:1], exec
                                        ; implicit-def: $vgpr82
	s_or_saveexec_b64 s[2:3], s[2:3]
	v_mov_b32_e32 v172, s7
	s_xor_b64 exec, exec, s[2:3]
	s_cbranch_execz .LBB8_372
.LBB8_886:
	v_cmp_ne_u16_e32 vcc, 0, v82
	s_andn2_b64 s[0:1], s[0:1], exec
	s_and_b64 s[4:5], vcc, exec
	v_mov_b32_e32 v172, 0
	s_or_b64 s[0:1], s[0:1], s[4:5]
	s_or_b64 exec, exec, s[2:3]
	s_and_saveexec_b64 s[2:3], s[0:1]
	s_cbranch_execnz .LBB8_373
	s_branch .LBB8_374
.LBB8_887:
	s_movk_i32 s0, 0x80
	v_cmp_eq_u16_e32 vcc, s0, v82
	s_mov_b64 s[0:1], -1
                                        ; implicit-def: $sgpr7
	s_and_saveexec_b64 s[4:5], vcc
; %bb.888:
	s_mov_b32 s7, 0x7f800001
	s_xor_b64 s[0:1], exec, -1
; %bb.889:
	s_or_b64 exec, exec, s[4:5]
	s_and_b64 s[0:1], s[0:1], exec
                                        ; implicit-def: $vgpr82
	s_or_saveexec_b64 s[2:3], s[2:3]
	v_mov_b32_e32 v173, s7
	s_xor_b64 exec, exec, s[2:3]
	s_cbranch_execz .LBB8_376
.LBB8_890:
	v_cmp_ne_u16_e32 vcc, 0, v82
	s_andn2_b64 s[0:1], s[0:1], exec
	s_and_b64 s[4:5], vcc, exec
	v_mov_b32_e32 v173, 0
	s_or_b64 s[0:1], s[0:1], s[4:5]
	s_or_b64 exec, exec, s[2:3]
	s_and_saveexec_b64 s[2:3], s[0:1]
	s_cbranch_execnz .LBB8_377
	s_branch .LBB8_378
.LBB8_891:
	s_movk_i32 s0, 0x80
	v_cmp_eq_u16_sdwa s[10:11], v77, s0 src0_sel:BYTE_0 src1_sel:DWORD
	s_mov_b64 s[0:1], -1
                                        ; implicit-def: $sgpr7
	s_and_saveexec_b64 s[4:5], s[10:11]
; %bb.892:
	s_mov_b32 s7, 0x7f800001
	s_xor_b64 s[0:1], exec, -1
; %bb.893:
	s_or_b64 exec, exec, s[4:5]
	s_and_b64 s[0:1], s[0:1], exec
	s_or_saveexec_b64 s[2:3], s[2:3]
	v_mov_b32_e32 v76, s7
	s_xor_b64 exec, exec, s[2:3]
	s_cbranch_execz .LBB8_380
.LBB8_894:
	v_mov_b32_e32 v76, 0
	v_cmp_ne_u16_sdwa s[4:5], v77, v76 src0_sel:BYTE_0 src1_sel:DWORD
	s_andn2_b64 s[0:1], s[0:1], exec
	s_and_b64 s[4:5], s[4:5], exec
	s_or_b64 s[0:1], s[0:1], s[4:5]
	s_or_b64 exec, exec, s[2:3]
	s_and_saveexec_b64 s[2:3], s[0:1]
	s_cbranch_execnz .LBB8_381
	s_branch .LBB8_382
.LBB8_895:
	s_movk_i32 s0, 0x80
	v_cmp_eq_u16_sdwa s[10:11], v77, s0 src0_sel:BYTE_1 src1_sel:DWORD
	s_mov_b64 s[0:1], -1
                                        ; implicit-def: $sgpr7
	s_and_saveexec_b64 s[4:5], s[10:11]
; %bb.896:
	s_mov_b32 s7, 0x7f800001
	s_xor_b64 s[0:1], exec, -1
; %bb.897:
	s_or_b64 exec, exec, s[4:5]
	s_and_b64 s[0:1], s[0:1], exec
	s_or_saveexec_b64 s[2:3], s[2:3]
	v_mov_b32_e32 v174, s7
	s_xor_b64 exec, exec, s[2:3]
	s_cbranch_execz .LBB8_384
.LBB8_898:
	v_mov_b32_e32 v174, 0
	v_cmp_ne_u16_sdwa s[4:5], v77, v174 src0_sel:BYTE_1 src1_sel:DWORD
	s_andn2_b64 s[0:1], s[0:1], exec
	s_and_b64 s[4:5], s[4:5], exec
	s_or_b64 s[0:1], s[0:1], s[4:5]
	s_or_b64 exec, exec, s[2:3]
	s_and_saveexec_b64 s[2:3], s[0:1]
	s_cbranch_execnz .LBB8_385
	s_branch .LBB8_386
.LBB8_899:
	s_movk_i32 s0, 0x80
	v_cmp_eq_u16_e32 vcc, s0, v82
	s_mov_b64 s[0:1], -1
                                        ; implicit-def: $sgpr7
	s_and_saveexec_b64 s[4:5], vcc
; %bb.900:
	s_mov_b32 s7, 0x7f800001
	s_xor_b64 s[0:1], exec, -1
; %bb.901:
	s_or_b64 exec, exec, s[4:5]
	s_and_b64 s[0:1], s[0:1], exec
                                        ; implicit-def: $vgpr82
	s_or_saveexec_b64 s[2:3], s[2:3]
	v_mov_b32_e32 v175, s7
	s_xor_b64 exec, exec, s[2:3]
	s_cbranch_execz .LBB8_388
.LBB8_902:
	v_cmp_ne_u16_e32 vcc, 0, v82
	s_andn2_b64 s[0:1], s[0:1], exec
	s_and_b64 s[4:5], vcc, exec
	v_mov_b32_e32 v175, 0
	s_or_b64 s[0:1], s[0:1], s[4:5]
	s_or_b64 exec, exec, s[2:3]
	s_and_saveexec_b64 s[2:3], s[0:1]
	s_cbranch_execnz .LBB8_389
	s_branch .LBB8_390
.LBB8_903:
	s_movk_i32 s0, 0x80
	v_cmp_eq_u16_e32 vcc, s0, v82
	s_mov_b64 s[0:1], -1
                                        ; implicit-def: $sgpr7
	s_and_saveexec_b64 s[4:5], vcc
; %bb.904:
	s_mov_b32 s7, 0x7f800001
	s_xor_b64 s[0:1], exec, -1
; %bb.905:
	s_or_b64 exec, exec, s[4:5]
	s_and_b64 s[0:1], s[0:1], exec
                                        ; implicit-def: $vgpr82
	s_or_saveexec_b64 s[2:3], s[2:3]
	v_mov_b32_e32 v176, s7
	s_xor_b64 exec, exec, s[2:3]
	s_cbranch_execz .LBB8_392
.LBB8_906:
	v_cmp_ne_u16_e32 vcc, 0, v82
	s_andn2_b64 s[0:1], s[0:1], exec
	s_and_b64 s[4:5], vcc, exec
	v_mov_b32_e32 v176, 0
	s_or_b64 s[0:1], s[0:1], s[4:5]
	s_or_b64 exec, exec, s[2:3]
	s_and_saveexec_b64 s[2:3], s[0:1]
	s_cbranch_execnz .LBB8_393
	s_branch .LBB8_394
.LBB8_907:
	s_movk_i32 s0, 0x80
	v_cmp_eq_u16_sdwa s[10:11], v70, s0 src0_sel:BYTE_0 src1_sel:DWORD
	s_mov_b64 s[0:1], -1
                                        ; implicit-def: $sgpr7
	s_and_saveexec_b64 s[4:5], s[10:11]
; %bb.908:
	s_mov_b32 s7, 0x7f800001
	s_xor_b64 s[0:1], exec, -1
; %bb.909:
	s_or_b64 exec, exec, s[4:5]
	s_and_b64 s[0:1], s[0:1], exec
	s_or_saveexec_b64 s[2:3], s[2:3]
	v_mov_b32_e32 v77, s7
	s_xor_b64 exec, exec, s[2:3]
	s_cbranch_execz .LBB8_396
.LBB8_910:
	v_mov_b32_e32 v77, 0
	v_cmp_ne_u16_sdwa s[4:5], v70, v77 src0_sel:BYTE_0 src1_sel:DWORD
	s_andn2_b64 s[0:1], s[0:1], exec
	s_and_b64 s[4:5], s[4:5], exec
	s_or_b64 s[0:1], s[0:1], s[4:5]
	s_or_b64 exec, exec, s[2:3]
	s_and_saveexec_b64 s[2:3], s[0:1]
	s_cbranch_execnz .LBB8_397
	s_branch .LBB8_398
.LBB8_911:
	s_movk_i32 s0, 0x80
	v_cmp_eq_u16_sdwa s[10:11], v70, s0 src0_sel:BYTE_1 src1_sel:DWORD
	s_mov_b64 s[0:1], -1
                                        ; implicit-def: $sgpr7
	s_and_saveexec_b64 s[4:5], s[10:11]
; %bb.912:
	s_mov_b32 s7, 0x7f800001
	s_xor_b64 s[0:1], exec, -1
; %bb.913:
	s_or_b64 exec, exec, s[4:5]
	s_and_b64 s[0:1], s[0:1], exec
	s_or_saveexec_b64 s[2:3], s[2:3]
	v_mov_b32_e32 v177, s7
	s_xor_b64 exec, exec, s[2:3]
	s_cbranch_execz .LBB8_400
.LBB8_914:
	v_mov_b32_e32 v177, 0
	v_cmp_ne_u16_sdwa s[4:5], v70, v177 src0_sel:BYTE_1 src1_sel:DWORD
	s_andn2_b64 s[0:1], s[0:1], exec
	s_and_b64 s[4:5], s[4:5], exec
	s_or_b64 s[0:1], s[0:1], s[4:5]
	s_or_b64 exec, exec, s[2:3]
	s_and_saveexec_b64 s[2:3], s[0:1]
	s_cbranch_execnz .LBB8_401
	s_branch .LBB8_402
.LBB8_915:
	s_movk_i32 s0, 0x80
	v_cmp_eq_u16_e32 vcc, s0, v82
	s_mov_b64 s[0:1], -1
                                        ; implicit-def: $sgpr7
	s_and_saveexec_b64 s[4:5], vcc
; %bb.916:
	s_mov_b32 s7, 0x7f800001
	s_xor_b64 s[0:1], exec, -1
; %bb.917:
	s_or_b64 exec, exec, s[4:5]
	s_and_b64 s[0:1], s[0:1], exec
                                        ; implicit-def: $vgpr82
	s_or_saveexec_b64 s[2:3], s[2:3]
	v_mov_b32_e32 v178, s7
	s_xor_b64 exec, exec, s[2:3]
	s_cbranch_execz .LBB8_404
.LBB8_918:
	v_cmp_ne_u16_e32 vcc, 0, v82
	s_andn2_b64 s[0:1], s[0:1], exec
	s_and_b64 s[4:5], vcc, exec
	v_mov_b32_e32 v178, 0
	s_or_b64 s[0:1], s[0:1], s[4:5]
	s_or_b64 exec, exec, s[2:3]
	s_and_saveexec_b64 s[2:3], s[0:1]
	s_cbranch_execnz .LBB8_405
	s_branch .LBB8_406
.LBB8_919:
	s_movk_i32 s0, 0x80
	v_cmp_eq_u16_e32 vcc, s0, v82
	s_mov_b64 s[0:1], -1
                                        ; implicit-def: $sgpr7
	s_and_saveexec_b64 s[4:5], vcc
; %bb.920:
	s_mov_b32 s7, 0x7f800001
	s_xor_b64 s[0:1], exec, -1
; %bb.921:
	s_or_b64 exec, exec, s[4:5]
	s_and_b64 s[0:1], s[0:1], exec
                                        ; implicit-def: $vgpr82
	s_or_saveexec_b64 s[2:3], s[2:3]
	v_mov_b32_e32 v179, s7
	s_xor_b64 exec, exec, s[2:3]
	s_cbranch_execz .LBB8_408
.LBB8_922:
	v_cmp_ne_u16_e32 vcc, 0, v82
	s_andn2_b64 s[0:1], s[0:1], exec
	s_and_b64 s[4:5], vcc, exec
	v_mov_b32_e32 v179, 0
	s_or_b64 s[0:1], s[0:1], s[4:5]
	s_or_b64 exec, exec, s[2:3]
	s_and_saveexec_b64 s[2:3], s[0:1]
	s_cbranch_execnz .LBB8_409
	s_branch .LBB8_410
.LBB8_923:
	s_movk_i32 s0, 0x80
	v_cmp_eq_u16_sdwa s[10:11], v71, s0 src0_sel:BYTE_0 src1_sel:DWORD
	s_mov_b64 s[0:1], -1
                                        ; implicit-def: $sgpr7
	s_and_saveexec_b64 s[4:5], s[10:11]
; %bb.924:
	s_mov_b32 s7, 0x7f800001
	s_xor_b64 s[0:1], exec, -1
; %bb.925:
	s_or_b64 exec, exec, s[4:5]
	s_and_b64 s[0:1], s[0:1], exec
	s_or_saveexec_b64 s[2:3], s[2:3]
	v_mov_b32_e32 v70, s7
	s_xor_b64 exec, exec, s[2:3]
	s_cbranch_execz .LBB8_412
.LBB8_926:
	v_mov_b32_e32 v70, 0
	v_cmp_ne_u16_sdwa s[4:5], v71, v70 src0_sel:BYTE_0 src1_sel:DWORD
	s_andn2_b64 s[0:1], s[0:1], exec
	s_and_b64 s[4:5], s[4:5], exec
	s_or_b64 s[0:1], s[0:1], s[4:5]
	s_or_b64 exec, exec, s[2:3]
	s_and_saveexec_b64 s[2:3], s[0:1]
	s_cbranch_execnz .LBB8_413
	s_branch .LBB8_414
.LBB8_927:
	s_movk_i32 s0, 0x80
	v_cmp_eq_u16_sdwa s[10:11], v71, s0 src0_sel:BYTE_1 src1_sel:DWORD
	s_mov_b64 s[0:1], -1
                                        ; implicit-def: $sgpr7
	s_and_saveexec_b64 s[4:5], s[10:11]
; %bb.928:
	s_mov_b32 s7, 0x7f800001
	s_xor_b64 s[0:1], exec, -1
; %bb.929:
	s_or_b64 exec, exec, s[4:5]
	s_and_b64 s[0:1], s[0:1], exec
	s_or_saveexec_b64 s[2:3], s[2:3]
	v_mov_b32_e32 v180, s7
	s_xor_b64 exec, exec, s[2:3]
	s_cbranch_execz .LBB8_416
.LBB8_930:
	v_mov_b32_e32 v180, 0
	v_cmp_ne_u16_sdwa s[4:5], v71, v180 src0_sel:BYTE_1 src1_sel:DWORD
	s_andn2_b64 s[0:1], s[0:1], exec
	s_and_b64 s[4:5], s[4:5], exec
	s_or_b64 s[0:1], s[0:1], s[4:5]
	s_or_b64 exec, exec, s[2:3]
	s_and_saveexec_b64 s[2:3], s[0:1]
	s_cbranch_execnz .LBB8_417
	s_branch .LBB8_418
.LBB8_931:
	s_movk_i32 s0, 0x80
	v_cmp_eq_u16_e32 vcc, s0, v82
	s_mov_b64 s[0:1], -1
                                        ; implicit-def: $sgpr7
	s_and_saveexec_b64 s[4:5], vcc
; %bb.932:
	s_mov_b32 s7, 0x7f800001
	s_xor_b64 s[0:1], exec, -1
; %bb.933:
	s_or_b64 exec, exec, s[4:5]
	s_and_b64 s[0:1], s[0:1], exec
                                        ; implicit-def: $vgpr82
	s_or_saveexec_b64 s[2:3], s[2:3]
	v_mov_b32_e32 v181, s7
	s_xor_b64 exec, exec, s[2:3]
	s_cbranch_execz .LBB8_420
.LBB8_934:
	v_cmp_ne_u16_e32 vcc, 0, v82
	s_andn2_b64 s[0:1], s[0:1], exec
	s_and_b64 s[4:5], vcc, exec
	v_mov_b32_e32 v181, 0
	s_or_b64 s[0:1], s[0:1], s[4:5]
	s_or_b64 exec, exec, s[2:3]
	s_and_saveexec_b64 s[2:3], s[0:1]
	s_cbranch_execnz .LBB8_421
	s_branch .LBB8_422
.LBB8_935:
	s_movk_i32 s0, 0x80
	v_cmp_eq_u16_e32 vcc, s0, v82
	s_mov_b64 s[0:1], -1
                                        ; implicit-def: $sgpr7
	s_and_saveexec_b64 s[4:5], vcc
; %bb.936:
	s_mov_b32 s7, 0x7f800001
	s_xor_b64 s[0:1], exec, -1
; %bb.937:
	s_or_b64 exec, exec, s[4:5]
	s_and_b64 s[0:1], s[0:1], exec
                                        ; implicit-def: $vgpr82
	s_or_saveexec_b64 s[2:3], s[2:3]
	v_mov_b32_e32 v182, s7
	s_xor_b64 exec, exec, s[2:3]
	s_cbranch_execz .LBB8_424
.LBB8_938:
	v_cmp_ne_u16_e32 vcc, 0, v82
	s_andn2_b64 s[0:1], s[0:1], exec
	s_and_b64 s[4:5], vcc, exec
	v_mov_b32_e32 v182, 0
	s_or_b64 s[0:1], s[0:1], s[4:5]
	s_or_b64 exec, exec, s[2:3]
	s_and_saveexec_b64 s[2:3], s[0:1]
	s_cbranch_execnz .LBB8_425
	s_branch .LBB8_426
.LBB8_939:
	s_movk_i32 s0, 0x80
	v_cmp_eq_u16_sdwa s[10:11], v72, s0 src0_sel:BYTE_0 src1_sel:DWORD
	s_mov_b64 s[0:1], -1
                                        ; implicit-def: $sgpr7
	s_and_saveexec_b64 s[4:5], s[10:11]
; %bb.940:
	s_mov_b32 s7, 0x7f800001
	s_xor_b64 s[0:1], exec, -1
; %bb.941:
	s_or_b64 exec, exec, s[4:5]
	s_and_b64 s[0:1], s[0:1], exec
	s_or_saveexec_b64 s[2:3], s[2:3]
	v_mov_b32_e32 v71, s7
	s_xor_b64 exec, exec, s[2:3]
	s_cbranch_execz .LBB8_428
.LBB8_942:
	v_mov_b32_e32 v71, 0
	v_cmp_ne_u16_sdwa s[4:5], v72, v71 src0_sel:BYTE_0 src1_sel:DWORD
	s_andn2_b64 s[0:1], s[0:1], exec
	s_and_b64 s[4:5], s[4:5], exec
	s_or_b64 s[0:1], s[0:1], s[4:5]
	s_or_b64 exec, exec, s[2:3]
	s_and_saveexec_b64 s[2:3], s[0:1]
	s_cbranch_execnz .LBB8_429
	s_branch .LBB8_430
.LBB8_943:
	s_movk_i32 s0, 0x80
	v_cmp_eq_u16_sdwa s[10:11], v72, s0 src0_sel:BYTE_1 src1_sel:DWORD
	s_mov_b64 s[0:1], -1
                                        ; implicit-def: $sgpr7
	s_and_saveexec_b64 s[4:5], s[10:11]
; %bb.944:
	s_mov_b32 s7, 0x7f800001
	s_xor_b64 s[0:1], exec, -1
; %bb.945:
	s_or_b64 exec, exec, s[4:5]
	s_and_b64 s[0:1], s[0:1], exec
	s_or_saveexec_b64 s[2:3], s[2:3]
	v_mov_b32_e32 v84, s7
	s_xor_b64 exec, exec, s[2:3]
	s_cbranch_execz .LBB8_432
.LBB8_946:
	v_mov_b32_e32 v84, 0
	v_cmp_ne_u16_sdwa s[4:5], v72, v84 src0_sel:BYTE_1 src1_sel:DWORD
	s_andn2_b64 s[0:1], s[0:1], exec
	s_and_b64 s[4:5], s[4:5], exec
	s_or_b64 s[0:1], s[0:1], s[4:5]
	s_or_b64 exec, exec, s[2:3]
	s_and_saveexec_b64 s[2:3], s[0:1]
	s_cbranch_execnz .LBB8_433
	s_branch .LBB8_434
.LBB8_947:
	s_movk_i32 s0, 0x80
	v_cmp_eq_u16_e32 vcc, s0, v82
	s_mov_b64 s[0:1], -1
                                        ; implicit-def: $sgpr7
	s_and_saveexec_b64 s[4:5], vcc
; %bb.948:
	s_mov_b32 s7, 0x7f800001
	s_xor_b64 s[0:1], exec, -1
; %bb.949:
	s_or_b64 exec, exec, s[4:5]
	s_and_b64 s[0:1], s[0:1], exec
                                        ; implicit-def: $vgpr82
	s_or_saveexec_b64 s[2:3], s[2:3]
	v_mov_b32_e32 v85, s7
	s_xor_b64 exec, exec, s[2:3]
	s_cbranch_execz .LBB8_436
.LBB8_950:
	v_cmp_ne_u16_e32 vcc, 0, v82
	s_andn2_b64 s[0:1], s[0:1], exec
	s_and_b64 s[4:5], vcc, exec
	v_mov_b32_e32 v85, 0
	s_or_b64 s[0:1], s[0:1], s[4:5]
	s_or_b64 exec, exec, s[2:3]
	s_and_saveexec_b64 s[2:3], s[0:1]
	s_cbranch_execnz .LBB8_437
	s_branch .LBB8_438
.LBB8_951:
	s_movk_i32 s0, 0x80
	v_cmp_eq_u16_e32 vcc, s0, v82
	s_mov_b64 s[0:1], -1
                                        ; implicit-def: $sgpr7
	s_and_saveexec_b64 s[4:5], vcc
; %bb.952:
	s_mov_b32 s7, 0x7f800001
	s_xor_b64 s[0:1], exec, -1
; %bb.953:
	s_or_b64 exec, exec, s[4:5]
	s_and_b64 s[0:1], s[0:1], exec
                                        ; implicit-def: $vgpr82
	s_or_saveexec_b64 s[2:3], s[2:3]
	v_mov_b32_e32 v183, s7
	s_xor_b64 exec, exec, s[2:3]
	s_cbranch_execz .LBB8_440
.LBB8_954:
	v_cmp_ne_u16_e32 vcc, 0, v82
	s_andn2_b64 s[0:1], s[0:1], exec
	s_and_b64 s[4:5], vcc, exec
	v_mov_b32_e32 v183, 0
	s_or_b64 s[0:1], s[0:1], s[4:5]
	s_or_b64 exec, exec, s[2:3]
	s_and_saveexec_b64 s[2:3], s[0:1]
	s_cbranch_execnz .LBB8_441
	s_branch .LBB8_442
.LBB8_955:
	s_movk_i32 s0, 0x80
	v_cmp_eq_u16_sdwa s[10:11], v73, s0 src0_sel:BYTE_0 src1_sel:DWORD
	s_mov_b64 s[0:1], -1
                                        ; implicit-def: $sgpr7
	s_and_saveexec_b64 s[4:5], s[10:11]
; %bb.956:
	s_mov_b32 s7, 0x7f800001
	s_xor_b64 s[0:1], exec, -1
; %bb.957:
	s_or_b64 exec, exec, s[4:5]
	s_and_b64 s[0:1], s[0:1], exec
	s_or_saveexec_b64 s[2:3], s[2:3]
	v_mov_b32_e32 v72, s7
	s_xor_b64 exec, exec, s[2:3]
	s_cbranch_execz .LBB8_444
.LBB8_958:
	v_mov_b32_e32 v72, 0
	v_cmp_ne_u16_sdwa s[4:5], v73, v72 src0_sel:BYTE_0 src1_sel:DWORD
	s_andn2_b64 s[0:1], s[0:1], exec
	s_and_b64 s[4:5], s[4:5], exec
	s_or_b64 s[0:1], s[0:1], s[4:5]
	s_or_b64 exec, exec, s[2:3]
	s_and_saveexec_b64 s[2:3], s[0:1]
	s_cbranch_execnz .LBB8_445
	s_branch .LBB8_446
.LBB8_959:
	s_movk_i32 s0, 0x80
	v_cmp_eq_u16_sdwa s[10:11], v73, s0 src0_sel:BYTE_1 src1_sel:DWORD
	s_mov_b64 s[0:1], -1
                                        ; implicit-def: $sgpr7
	s_and_saveexec_b64 s[4:5], s[10:11]
; %bb.960:
	s_mov_b32 s7, 0x7f800001
	s_xor_b64 s[0:1], exec, -1
; %bb.961:
	s_or_b64 exec, exec, s[4:5]
	s_and_b64 s[0:1], s[0:1], exec
	s_or_saveexec_b64 s[2:3], s[2:3]
	v_mov_b32_e32 v82, s7
	s_xor_b64 exec, exec, s[2:3]
	s_cbranch_execz .LBB8_448
.LBB8_962:
	v_mov_b32_e32 v82, 0
	v_cmp_ne_u16_sdwa s[4:5], v73, v82 src0_sel:BYTE_1 src1_sel:DWORD
	s_andn2_b64 s[0:1], s[0:1], exec
	s_and_b64 s[4:5], s[4:5], exec
	s_or_b64 s[0:1], s[0:1], s[4:5]
	s_or_b64 exec, exec, s[2:3]
	s_and_saveexec_b64 s[2:3], s[0:1]
	s_cbranch_execnz .LBB8_449
	s_branch .LBB8_450
.LBB8_963:
	s_movk_i32 s0, 0x80
	v_cmp_eq_u16_e32 vcc, s0, v184
	s_mov_b64 s[0:1], -1
                                        ; implicit-def: $sgpr7
	s_and_saveexec_b64 s[4:5], vcc
; %bb.964:
	s_mov_b32 s7, 0x7f800001
	s_xor_b64 s[0:1], exec, -1
; %bb.965:
	s_or_b64 exec, exec, s[4:5]
	s_and_b64 s[0:1], s[0:1], exec
                                        ; implicit-def: $vgpr184
	s_or_saveexec_b64 s[2:3], s[2:3]
	v_mov_b32_e32 v83, s7
	s_xor_b64 exec, exec, s[2:3]
	s_cbranch_execz .LBB8_452
.LBB8_966:
	v_cmp_ne_u16_e32 vcc, 0, v184
	s_andn2_b64 s[0:1], s[0:1], exec
	s_and_b64 s[4:5], vcc, exec
	v_mov_b32_e32 v83, 0
	s_or_b64 s[0:1], s[0:1], s[4:5]
	s_or_b64 exec, exec, s[2:3]
	s_and_saveexec_b64 s[2:3], s[0:1]
	s_cbranch_execnz .LBB8_453
	s_branch .LBB8_454
.LBB8_967:
	s_movk_i32 s0, 0x80
	v_cmp_eq_u16_e32 vcc, s0, v185
	s_mov_b64 s[0:1], -1
                                        ; implicit-def: $sgpr7
	s_and_saveexec_b64 s[4:5], vcc
; %bb.968:
	s_mov_b32 s7, 0x7f800001
	s_xor_b64 s[0:1], exec, -1
; %bb.969:
	s_or_b64 exec, exec, s[4:5]
	s_and_b64 s[0:1], s[0:1], exec
                                        ; implicit-def: $vgpr185
	s_or_saveexec_b64 s[2:3], s[2:3]
	v_mov_b32_e32 v184, s7
	s_xor_b64 exec, exec, s[2:3]
	s_cbranch_execz .LBB8_456
.LBB8_970:
	v_cmp_ne_u16_e32 vcc, 0, v185
	s_andn2_b64 s[0:1], s[0:1], exec
	s_and_b64 s[4:5], vcc, exec
	v_mov_b32_e32 v184, 0
	s_or_b64 s[0:1], s[0:1], s[4:5]
	s_or_b64 exec, exec, s[2:3]
	s_and_saveexec_b64 s[2:3], s[0:1]
	s_cbranch_execnz .LBB8_457
	s_branch .LBB8_458
.LBB8_971:
	s_movk_i32 s0, 0x80
	v_cmp_eq_u16_sdwa s[10:11], v66, s0 src0_sel:BYTE_0 src1_sel:DWORD
	s_mov_b64 s[0:1], -1
                                        ; implicit-def: $sgpr7
	s_and_saveexec_b64 s[4:5], s[10:11]
; %bb.972:
	s_mov_b32 s7, 0x7f800001
	s_xor_b64 s[0:1], exec, -1
; %bb.973:
	s_or_b64 exec, exec, s[4:5]
	s_and_b64 s[0:1], s[0:1], exec
	s_or_saveexec_b64 s[2:3], s[2:3]
	v_mov_b32_e32 v185, s7
	s_xor_b64 exec, exec, s[2:3]
	s_cbranch_execz .LBB8_460
.LBB8_974:
	v_mov_b32_e32 v185, 0
	v_cmp_ne_u16_sdwa s[4:5], v66, v185 src0_sel:BYTE_0 src1_sel:DWORD
	s_andn2_b64 s[0:1], s[0:1], exec
	s_and_b64 s[4:5], s[4:5], exec
	s_or_b64 s[0:1], s[0:1], s[4:5]
	s_or_b64 exec, exec, s[2:3]
	s_and_saveexec_b64 s[2:3], s[0:1]
	s_cbranch_execnz .LBB8_461
	s_branch .LBB8_462
.LBB8_975:
	s_movk_i32 s0, 0x80
	v_cmp_eq_u16_sdwa s[10:11], v66, s0 src0_sel:BYTE_1 src1_sel:DWORD
	s_mov_b64 s[0:1], -1
                                        ; implicit-def: $sgpr7
	s_and_saveexec_b64 s[4:5], s[10:11]
; %bb.976:
	s_mov_b32 s7, 0x7f800001
	s_xor_b64 s[0:1], exec, -1
; %bb.977:
	s_or_b64 exec, exec, s[4:5]
	s_and_b64 s[0:1], s[0:1], exec
	s_or_saveexec_b64 s[2:3], s[2:3]
	v_mov_b32_e32 v186, s7
	s_xor_b64 exec, exec, s[2:3]
	s_cbranch_execz .LBB8_464
.LBB8_978:
	v_mov_b32_e32 v186, 0
	v_cmp_ne_u16_sdwa s[4:5], v66, v186 src0_sel:BYTE_1 src1_sel:DWORD
	s_andn2_b64 s[0:1], s[0:1], exec
	s_and_b64 s[4:5], s[4:5], exec
	s_or_b64 s[0:1], s[0:1], s[4:5]
	s_or_b64 exec, exec, s[2:3]
	s_and_saveexec_b64 s[2:3], s[0:1]
	s_cbranch_execnz .LBB8_465
	s_branch .LBB8_466
.LBB8_979:
	s_movk_i32 s0, 0x80
	v_cmp_eq_u16_e32 vcc, s0, v73
	s_mov_b64 s[0:1], -1
                                        ; implicit-def: $sgpr7
	s_and_saveexec_b64 s[4:5], vcc
; %bb.980:
	s_mov_b32 s7, 0x7f800001
	s_xor_b64 s[0:1], exec, -1
; %bb.981:
	s_or_b64 exec, exec, s[4:5]
	s_and_b64 s[0:1], s[0:1], exec
                                        ; implicit-def: $vgpr73
	s_or_saveexec_b64 s[2:3], s[2:3]
	v_mov_b32_e32 v187, s7
	s_xor_b64 exec, exec, s[2:3]
	s_cbranch_execz .LBB8_468
.LBB8_982:
	v_cmp_ne_u16_e32 vcc, 0, v73
	s_andn2_b64 s[0:1], s[0:1], exec
	s_and_b64 s[4:5], vcc, exec
	v_mov_b32_e32 v187, 0
	s_or_b64 s[0:1], s[0:1], s[4:5]
	s_or_b64 exec, exec, s[2:3]
	s_and_saveexec_b64 s[2:3], s[0:1]
	s_cbranch_execnz .LBB8_469
	s_branch .LBB8_470
.LBB8_983:
	s_movk_i32 s0, 0x80
	v_cmp_eq_u16_e32 vcc, s0, v73
	s_mov_b64 s[0:1], -1
                                        ; implicit-def: $sgpr7
	s_and_saveexec_b64 s[4:5], vcc
; %bb.984:
	s_mov_b32 s7, 0x7f800001
	s_xor_b64 s[0:1], exec, -1
; %bb.985:
	s_or_b64 exec, exec, s[4:5]
	s_and_b64 s[0:1], s[0:1], exec
                                        ; implicit-def: $vgpr73
	s_or_saveexec_b64 s[2:3], s[2:3]
	v_mov_b32_e32 v188, s7
	s_xor_b64 exec, exec, s[2:3]
	s_cbranch_execz .LBB8_472
.LBB8_986:
	v_cmp_ne_u16_e32 vcc, 0, v73
	s_andn2_b64 s[0:1], s[0:1], exec
	s_and_b64 s[4:5], vcc, exec
	v_mov_b32_e32 v188, 0
	s_or_b64 s[0:1], s[0:1], s[4:5]
	s_or_b64 exec, exec, s[2:3]
	s_and_saveexec_b64 s[2:3], s[0:1]
	s_cbranch_execnz .LBB8_473
	s_branch .LBB8_474
.LBB8_987:
	s_movk_i32 s0, 0x80
	v_cmp_eq_u16_sdwa s[10:11], v67, s0 src0_sel:BYTE_0 src1_sel:DWORD
	s_mov_b64 s[0:1], -1
                                        ; implicit-def: $sgpr7
	s_and_saveexec_b64 s[4:5], s[10:11]
; %bb.988:
	s_mov_b32 s7, 0x7f800001
	s_xor_b64 s[0:1], exec, -1
; %bb.989:
	s_or_b64 exec, exec, s[4:5]
	s_and_b64 s[0:1], s[0:1], exec
	s_or_saveexec_b64 s[2:3], s[2:3]
	v_mov_b32_e32 v189, s7
	s_xor_b64 exec, exec, s[2:3]
	s_cbranch_execz .LBB8_476
.LBB8_990:
	v_mov_b32_e32 v189, 0
	v_cmp_ne_u16_sdwa s[4:5], v67, v189 src0_sel:BYTE_0 src1_sel:DWORD
	s_andn2_b64 s[0:1], s[0:1], exec
	s_and_b64 s[4:5], s[4:5], exec
	s_or_b64 s[0:1], s[0:1], s[4:5]
	s_or_b64 exec, exec, s[2:3]
	s_and_saveexec_b64 s[2:3], s[0:1]
	s_cbranch_execnz .LBB8_477
	s_branch .LBB8_478
.LBB8_991:
	s_movk_i32 s0, 0x80
	v_cmp_eq_u16_sdwa s[10:11], v67, s0 src0_sel:BYTE_1 src1_sel:DWORD
	s_mov_b64 s[0:1], -1
                                        ; implicit-def: $sgpr7
	s_and_saveexec_b64 s[4:5], s[10:11]
; %bb.992:
	s_mov_b32 s7, 0x7f800001
	s_xor_b64 s[0:1], exec, -1
; %bb.993:
	s_or_b64 exec, exec, s[4:5]
	s_and_b64 s[0:1], s[0:1], exec
	s_or_saveexec_b64 s[2:3], s[2:3]
	v_mov_b32_e32 v190, s7
	s_xor_b64 exec, exec, s[2:3]
	s_cbranch_execz .LBB8_480
.LBB8_994:
	v_mov_b32_e32 v190, 0
	v_cmp_ne_u16_sdwa s[4:5], v67, v190 src0_sel:BYTE_1 src1_sel:DWORD
	s_andn2_b64 s[0:1], s[0:1], exec
	s_and_b64 s[4:5], s[4:5], exec
	s_or_b64 s[0:1], s[0:1], s[4:5]
	s_or_b64 exec, exec, s[2:3]
	s_and_saveexec_b64 s[2:3], s[0:1]
	s_cbranch_execnz .LBB8_481
	s_branch .LBB8_482
.LBB8_995:
	s_movk_i32 s0, 0x80
	v_cmp_eq_u16_e32 vcc, s0, v66
	s_mov_b64 s[0:1], -1
                                        ; implicit-def: $sgpr7
	s_and_saveexec_b64 s[4:5], vcc
; %bb.996:
	s_mov_b32 s7, 0x7f800001
	s_xor_b64 s[0:1], exec, -1
; %bb.997:
	s_or_b64 exec, exec, s[4:5]
	s_and_b64 s[0:1], s[0:1], exec
                                        ; implicit-def: $vgpr66
	s_or_saveexec_b64 s[2:3], s[2:3]
	v_mov_b32_e32 v191, s7
	s_xor_b64 exec, exec, s[2:3]
	s_cbranch_execz .LBB8_484
.LBB8_998:
	v_cmp_ne_u16_e32 vcc, 0, v66
	s_andn2_b64 s[0:1], s[0:1], exec
	s_and_b64 s[4:5], vcc, exec
	v_mov_b32_e32 v191, 0
	s_or_b64 s[0:1], s[0:1], s[4:5]
	s_or_b64 exec, exec, s[2:3]
	s_and_saveexec_b64 s[2:3], s[0:1]
	s_cbranch_execnz .LBB8_485
	s_branch .LBB8_486
.LBB8_999:
	s_movk_i32 s0, 0x80
	v_cmp_eq_u16_e32 vcc, s0, v66
	s_mov_b64 s[0:1], -1
                                        ; implicit-def: $sgpr7
	s_and_saveexec_b64 s[4:5], vcc
; %bb.1000:
	s_mov_b32 s7, 0x7f800001
	s_xor_b64 s[0:1], exec, -1
; %bb.1001:
	s_or_b64 exec, exec, s[4:5]
	s_and_b64 s[0:1], s[0:1], exec
                                        ; implicit-def: $vgpr66
	s_or_saveexec_b64 s[2:3], s[2:3]
	v_mov_b32_e32 v192, s7
	s_xor_b64 exec, exec, s[2:3]
	s_cbranch_execz .LBB8_488
.LBB8_1002:
	v_cmp_ne_u16_e32 vcc, 0, v66
	s_andn2_b64 s[0:1], s[0:1], exec
	s_and_b64 s[4:5], vcc, exec
	v_mov_b32_e32 v192, 0
	s_or_b64 s[0:1], s[0:1], s[4:5]
	s_or_b64 exec, exec, s[2:3]
	s_and_saveexec_b64 s[2:3], s[0:1]
	s_cbranch_execnz .LBB8_489
	s_branch .LBB8_490
.LBB8_1003:
	s_movk_i32 s0, 0x80
	v_cmp_eq_u16_sdwa s[10:11], v68, s0 src0_sel:BYTE_0 src1_sel:DWORD
	s_mov_b64 s[0:1], -1
                                        ; implicit-def: $sgpr7
	s_and_saveexec_b64 s[4:5], s[10:11]
; %bb.1004:
	s_mov_b32 s7, 0x7f800001
	s_xor_b64 s[0:1], exec, -1
; %bb.1005:
	s_or_b64 exec, exec, s[4:5]
	s_and_b64 s[0:1], s[0:1], exec
	s_or_saveexec_b64 s[2:3], s[2:3]
	v_mov_b32_e32 v193, s7
	s_xor_b64 exec, exec, s[2:3]
	s_cbranch_execz .LBB8_492
.LBB8_1006:
	v_mov_b32_e32 v193, 0
	v_cmp_ne_u16_sdwa s[4:5], v68, v193 src0_sel:BYTE_0 src1_sel:DWORD
	s_andn2_b64 s[0:1], s[0:1], exec
	s_and_b64 s[4:5], s[4:5], exec
	s_or_b64 s[0:1], s[0:1], s[4:5]
	s_or_b64 exec, exec, s[2:3]
	s_and_saveexec_b64 s[2:3], s[0:1]
	s_cbranch_execnz .LBB8_493
	s_branch .LBB8_494
.LBB8_1007:
	s_movk_i32 s0, 0x80
	v_cmp_eq_u16_sdwa s[10:11], v68, s0 src0_sel:BYTE_1 src1_sel:DWORD
	s_mov_b64 s[0:1], -1
                                        ; implicit-def: $sgpr7
	s_and_saveexec_b64 s[4:5], s[10:11]
; %bb.1008:
	s_mov_b32 s7, 0x7f800001
	s_xor_b64 s[0:1], exec, -1
; %bb.1009:
	s_or_b64 exec, exec, s[4:5]
	s_and_b64 s[0:1], s[0:1], exec
	s_or_saveexec_b64 s[2:3], s[2:3]
	v_mov_b32_e32 v194, s7
	s_xor_b64 exec, exec, s[2:3]
	s_cbranch_execz .LBB8_496
.LBB8_1010:
	v_mov_b32_e32 v194, 0
	v_cmp_ne_u16_sdwa s[4:5], v68, v194 src0_sel:BYTE_1 src1_sel:DWORD
	s_andn2_b64 s[0:1], s[0:1], exec
	s_and_b64 s[4:5], s[4:5], exec
	s_or_b64 s[0:1], s[0:1], s[4:5]
	s_or_b64 exec, exec, s[2:3]
	s_and_saveexec_b64 s[2:3], s[0:1]
	s_cbranch_execnz .LBB8_497
	s_branch .LBB8_498
.LBB8_1011:
	s_movk_i32 s0, 0x80
	v_cmp_eq_u16_e32 vcc, s0, v66
	s_mov_b64 s[0:1], -1
                                        ; implicit-def: $sgpr7
	s_and_saveexec_b64 s[4:5], vcc
; %bb.1012:
	s_mov_b32 s7, 0x7f800001
	s_xor_b64 s[0:1], exec, -1
; %bb.1013:
	s_or_b64 exec, exec, s[4:5]
	s_and_b64 s[0:1], s[0:1], exec
                                        ; implicit-def: $vgpr66
	s_or_saveexec_b64 s[2:3], s[2:3]
	v_mov_b32_e32 v195, s7
	s_xor_b64 exec, exec, s[2:3]
	s_cbranch_execz .LBB8_500
.LBB8_1014:
	v_cmp_ne_u16_e32 vcc, 0, v66
	s_andn2_b64 s[0:1], s[0:1], exec
	s_and_b64 s[4:5], vcc, exec
	v_mov_b32_e32 v195, 0
	s_or_b64 s[0:1], s[0:1], s[4:5]
	s_or_b64 exec, exec, s[2:3]
	s_and_saveexec_b64 s[2:3], s[0:1]
	s_cbranch_execnz .LBB8_501
	s_branch .LBB8_502
.LBB8_1015:
	s_movk_i32 s0, 0x80
	v_cmp_eq_u16_e32 vcc, s0, v66
	s_mov_b64 s[0:1], -1
                                        ; implicit-def: $sgpr7
	s_and_saveexec_b64 s[4:5], vcc
; %bb.1016:
	s_mov_b32 s7, 0x7f800001
	s_xor_b64 s[0:1], exec, -1
; %bb.1017:
	s_or_b64 exec, exec, s[4:5]
	s_and_b64 s[0:1], s[0:1], exec
                                        ; implicit-def: $vgpr66
	s_or_saveexec_b64 s[2:3], s[2:3]
	v_mov_b32_e32 v196, s7
	s_xor_b64 exec, exec, s[2:3]
	s_cbranch_execz .LBB8_504
.LBB8_1018:
	v_cmp_ne_u16_e32 vcc, 0, v66
	s_andn2_b64 s[0:1], s[0:1], exec
	s_and_b64 s[4:5], vcc, exec
	v_mov_b32_e32 v196, 0
	s_or_b64 s[0:1], s[0:1], s[4:5]
	s_or_b64 exec, exec, s[2:3]
	s_and_saveexec_b64 s[2:3], s[0:1]
	s_cbranch_execnz .LBB8_505
	s_branch .LBB8_506
.LBB8_1019:
	s_movk_i32 s0, 0x80
	v_cmp_eq_u16_sdwa s[10:11], v69, s0 src0_sel:BYTE_0 src1_sel:DWORD
	s_mov_b64 s[0:1], -1
                                        ; implicit-def: $sgpr7
	s_and_saveexec_b64 s[4:5], s[10:11]
; %bb.1020:
	s_mov_b32 s7, 0x7f800001
	s_xor_b64 s[0:1], exec, -1
; %bb.1021:
	s_or_b64 exec, exec, s[4:5]
	s_and_b64 s[0:1], s[0:1], exec
	s_or_saveexec_b64 s[2:3], s[2:3]
	v_mov_b32_e32 v197, s7
	s_xor_b64 exec, exec, s[2:3]
	s_cbranch_execz .LBB8_508
.LBB8_1022:
	v_mov_b32_e32 v197, 0
	v_cmp_ne_u16_sdwa s[4:5], v69, v197 src0_sel:BYTE_0 src1_sel:DWORD
	s_andn2_b64 s[0:1], s[0:1], exec
	s_and_b64 s[4:5], s[4:5], exec
	s_or_b64 s[0:1], s[0:1], s[4:5]
	s_or_b64 exec, exec, s[2:3]
	s_and_saveexec_b64 s[2:3], s[0:1]
	s_cbranch_execnz .LBB8_509
	s_branch .LBB8_510
.LBB8_1023:
	s_movk_i32 s0, 0x80
	v_cmp_eq_u16_sdwa s[10:11], v69, s0 src0_sel:BYTE_1 src1_sel:DWORD
	s_mov_b64 s[0:1], -1
                                        ; implicit-def: $sgpr7
	s_and_saveexec_b64 s[4:5], s[10:11]
; %bb.1024:
	s_mov_b32 s7, 0x7f800001
	s_xor_b64 s[0:1], exec, -1
; %bb.1025:
	s_or_b64 exec, exec, s[4:5]
	s_and_b64 s[0:1], s[0:1], exec
	s_or_saveexec_b64 s[2:3], s[2:3]
	v_mov_b32_e32 v198, s7
	s_xor_b64 exec, exec, s[2:3]
	s_cbranch_execz .LBB8_512
.LBB8_1026:
	v_mov_b32_e32 v198, 0
	v_cmp_ne_u16_sdwa s[4:5], v69, v198 src0_sel:BYTE_1 src1_sel:DWORD
	s_andn2_b64 s[0:1], s[0:1], exec
	s_and_b64 s[4:5], s[4:5], exec
	s_or_b64 s[0:1], s[0:1], s[4:5]
	s_or_b64 exec, exec, s[2:3]
	s_and_saveexec_b64 s[2:3], s[0:1]
	s_cbranch_execnz .LBB8_513
	s_branch .LBB8_514
.LBB8_1027:
	s_movk_i32 s0, 0x80
	v_cmp_eq_u16_e32 vcc, s0, v66
	s_mov_b64 s[0:1], -1
                                        ; implicit-def: $sgpr7
	s_and_saveexec_b64 s[4:5], vcc
; %bb.1028:
	s_mov_b32 s7, 0x7f800001
	s_xor_b64 s[0:1], exec, -1
; %bb.1029:
	s_or_b64 exec, exec, s[4:5]
	s_and_b64 s[0:1], s[0:1], exec
                                        ; implicit-def: $vgpr66
	s_or_saveexec_b64 s[2:3], s[2:3]
	v_mov_b32_e32 v199, s7
	s_xor_b64 exec, exec, s[2:3]
	s_cbranch_execz .LBB8_516
.LBB8_1030:
	v_cmp_ne_u16_e32 vcc, 0, v66
	s_andn2_b64 s[0:1], s[0:1], exec
	s_and_b64 s[4:5], vcc, exec
	v_mov_b32_e32 v199, 0
	s_or_b64 s[0:1], s[0:1], s[4:5]
	s_or_b64 exec, exec, s[2:3]
	s_and_saveexec_b64 s[2:3], s[0:1]
	s_cbranch_execnz .LBB8_517
	s_branch .LBB8_518
.LBB8_1031:
	s_movk_i32 s0, 0x80
	v_cmp_eq_u16_e32 vcc, s0, v66
	s_mov_b64 s[0:1], -1
                                        ; implicit-def: $sgpr7
	s_and_saveexec_b64 s[4:5], vcc
; %bb.1032:
	s_mov_b32 s7, 0x7f800001
	s_xor_b64 s[0:1], exec, -1
; %bb.1033:
	s_or_b64 exec, exec, s[4:5]
	s_and_b64 s[0:1], s[0:1], exec
                                        ; implicit-def: $vgpr66
	s_or_saveexec_b64 s[2:3], s[2:3]
	v_mov_b32_e32 v200, s7
	s_xor_b64 exec, exec, s[2:3]
	s_cbranch_execz .LBB8_520
.LBB8_1034:
	v_cmp_ne_u16_e32 vcc, 0, v66
	s_andn2_b64 s[0:1], s[0:1], exec
	s_and_b64 s[4:5], vcc, exec
	v_mov_b32_e32 v200, 0
	s_or_b64 s[0:1], s[0:1], s[4:5]
	s_or_b64 exec, exec, s[2:3]
	s_and_saveexec_b64 s[2:3], s[0:1]
	s_cbranch_execnz .LBB8_521
	s_branch .LBB8_522
	.section	.rodata,"a",@progbits
	.p2align	6, 0x0
	.amdhsa_kernel _ZN2ck27kernel_gemm_xdl_cshuffle_v3INS_28GridwiseGemm_xdl_cshuffle_v3INS_13tensor_layout4gemm8RowMajorENS3_11ColumnMajorES4_DF16_NS_9f8_fnuz_tEfDF16_DF16_NS_16tensor_operation12element_wise11PassThroughES9_S9_LNS7_6device18GemmSpecializationE0ELi64ELi32ELi32ELi256ELi8ELi16ELi16ELi16ELi2ELi2ENS_8SequenceIJLi32ELi2ELi1EEEENSC_IJLi1ELi0ELi2EEEESE_Li2ELi8ELi8ELb0ELi0ENSC_IJLi16ELi4ELi1EEEESE_SE_Li2ELi16ELi16ELb0ELi0ELi1ELi1ENSC_IJLi1ELi16ELi1ELi4EEEELi4ELNS_26BlockGemmPipelineSchedulerE1ELNS_24BlockGemmPipelineVersionE0EDF16_DF16_Lb0ELb0ELb0ELi0ELb0EEELb0ELNS_25InMemoryDataOperationEnumE0ELi2ELNS_10TailNumberE10EEEvNT_8ArgumentE
		.amdhsa_group_segment_fixed_size 24576
		.amdhsa_private_segment_fixed_size 0
		.amdhsa_kernarg_size 112
		.amdhsa_user_sgpr_count 6
		.amdhsa_user_sgpr_private_segment_buffer 1
		.amdhsa_user_sgpr_dispatch_ptr 0
		.amdhsa_user_sgpr_queue_ptr 0
		.amdhsa_user_sgpr_kernarg_segment_ptr 1
		.amdhsa_user_sgpr_dispatch_id 0
		.amdhsa_user_sgpr_flat_scratch_init 0
		.amdhsa_user_sgpr_kernarg_preload_length 0
		.amdhsa_user_sgpr_kernarg_preload_offset 0
		.amdhsa_user_sgpr_private_segment_size 0
		.amdhsa_uses_dynamic_stack 0
		.amdhsa_system_sgpr_private_segment_wavefront_offset 0
		.amdhsa_system_sgpr_workgroup_id_x 1
		.amdhsa_system_sgpr_workgroup_id_y 0
		.amdhsa_system_sgpr_workgroup_id_z 1
		.amdhsa_system_sgpr_workgroup_info 0
		.amdhsa_system_vgpr_workitem_id 0
		.amdhsa_next_free_vgpr 201
		.amdhsa_next_free_sgpr 26
		.amdhsa_accum_offset 204
		.amdhsa_reserve_vcc 1
		.amdhsa_reserve_flat_scratch 0
		.amdhsa_float_round_mode_32 0
		.amdhsa_float_round_mode_16_64 0
		.amdhsa_float_denorm_mode_32 3
		.amdhsa_float_denorm_mode_16_64 3
		.amdhsa_dx10_clamp 1
		.amdhsa_ieee_mode 1
		.amdhsa_fp16_overflow 0
		.amdhsa_tg_split 0
		.amdhsa_exception_fp_ieee_invalid_op 0
		.amdhsa_exception_fp_denorm_src 0
		.amdhsa_exception_fp_ieee_div_zero 0
		.amdhsa_exception_fp_ieee_overflow 0
		.amdhsa_exception_fp_ieee_underflow 0
		.amdhsa_exception_fp_ieee_inexact 0
		.amdhsa_exception_int_div_zero 0
	.end_amdhsa_kernel
	.section	.text._ZN2ck27kernel_gemm_xdl_cshuffle_v3INS_28GridwiseGemm_xdl_cshuffle_v3INS_13tensor_layout4gemm8RowMajorENS3_11ColumnMajorES4_DF16_NS_9f8_fnuz_tEfDF16_DF16_NS_16tensor_operation12element_wise11PassThroughES9_S9_LNS7_6device18GemmSpecializationE0ELi64ELi32ELi32ELi256ELi8ELi16ELi16ELi16ELi2ELi2ENS_8SequenceIJLi32ELi2ELi1EEEENSC_IJLi1ELi0ELi2EEEESE_Li2ELi8ELi8ELb0ELi0ENSC_IJLi16ELi4ELi1EEEESE_SE_Li2ELi16ELi16ELb0ELi0ELi1ELi1ENSC_IJLi1ELi16ELi1ELi4EEEELi4ELNS_26BlockGemmPipelineSchedulerE1ELNS_24BlockGemmPipelineVersionE0EDF16_DF16_Lb0ELb0ELb0ELi0ELb0EEELb0ELNS_25InMemoryDataOperationEnumE0ELi2ELNS_10TailNumberE10EEEvNT_8ArgumentE,"axG",@progbits,_ZN2ck27kernel_gemm_xdl_cshuffle_v3INS_28GridwiseGemm_xdl_cshuffle_v3INS_13tensor_layout4gemm8RowMajorENS3_11ColumnMajorES4_DF16_NS_9f8_fnuz_tEfDF16_DF16_NS_16tensor_operation12element_wise11PassThroughES9_S9_LNS7_6device18GemmSpecializationE0ELi64ELi32ELi32ELi256ELi8ELi16ELi16ELi16ELi2ELi2ENS_8SequenceIJLi32ELi2ELi1EEEENSC_IJLi1ELi0ELi2EEEESE_Li2ELi8ELi8ELb0ELi0ENSC_IJLi16ELi4ELi1EEEESE_SE_Li2ELi16ELi16ELb0ELi0ELi1ELi1ENSC_IJLi1ELi16ELi1ELi4EEEELi4ELNS_26BlockGemmPipelineSchedulerE1ELNS_24BlockGemmPipelineVersionE0EDF16_DF16_Lb0ELb0ELb0ELi0ELb0EEELb0ELNS_25InMemoryDataOperationEnumE0ELi2ELNS_10TailNumberE10EEEvNT_8ArgumentE,comdat
.Lfunc_end8:
	.size	_ZN2ck27kernel_gemm_xdl_cshuffle_v3INS_28GridwiseGemm_xdl_cshuffle_v3INS_13tensor_layout4gemm8RowMajorENS3_11ColumnMajorES4_DF16_NS_9f8_fnuz_tEfDF16_DF16_NS_16tensor_operation12element_wise11PassThroughES9_S9_LNS7_6device18GemmSpecializationE0ELi64ELi32ELi32ELi256ELi8ELi16ELi16ELi16ELi2ELi2ENS_8SequenceIJLi32ELi2ELi1EEEENSC_IJLi1ELi0ELi2EEEESE_Li2ELi8ELi8ELb0ELi0ENSC_IJLi16ELi4ELi1EEEESE_SE_Li2ELi16ELi16ELb0ELi0ELi1ELi1ENSC_IJLi1ELi16ELi1ELi4EEEELi4ELNS_26BlockGemmPipelineSchedulerE1ELNS_24BlockGemmPipelineVersionE0EDF16_DF16_Lb0ELb0ELb0ELi0ELb0EEELb0ELNS_25InMemoryDataOperationEnumE0ELi2ELNS_10TailNumberE10EEEvNT_8ArgumentE, .Lfunc_end8-_ZN2ck27kernel_gemm_xdl_cshuffle_v3INS_28GridwiseGemm_xdl_cshuffle_v3INS_13tensor_layout4gemm8RowMajorENS3_11ColumnMajorES4_DF16_NS_9f8_fnuz_tEfDF16_DF16_NS_16tensor_operation12element_wise11PassThroughES9_S9_LNS7_6device18GemmSpecializationE0ELi64ELi32ELi32ELi256ELi8ELi16ELi16ELi16ELi2ELi2ENS_8SequenceIJLi32ELi2ELi1EEEENSC_IJLi1ELi0ELi2EEEESE_Li2ELi8ELi8ELb0ELi0ENSC_IJLi16ELi4ELi1EEEESE_SE_Li2ELi16ELi16ELb0ELi0ELi1ELi1ENSC_IJLi1ELi16ELi1ELi4EEEELi4ELNS_26BlockGemmPipelineSchedulerE1ELNS_24BlockGemmPipelineVersionE0EDF16_DF16_Lb0ELb0ELb0ELi0ELb0EEELb0ELNS_25InMemoryDataOperationEnumE0ELi2ELNS_10TailNumberE10EEEvNT_8ArgumentE
                                        ; -- End function
	.section	.AMDGPU.csdata,"",@progbits
; Kernel info:
; codeLenInByte = 36784
; NumSgprs: 30
; NumVgprs: 201
; NumAgprs: 0
; TotalNumVgprs: 201
; ScratchSize: 0
; MemoryBound: 0
; FloatMode: 240
; IeeeMode: 1
; LDSByteSize: 24576 bytes/workgroup (compile time only)
; SGPRBlocks: 3
; VGPRBlocks: 25
; NumSGPRsForWavesPerEU: 30
; NumVGPRsForWavesPerEU: 201
; AccumOffset: 204
; Occupancy: 1
; WaveLimiterHint : 0
; COMPUTE_PGM_RSRC2:SCRATCH_EN: 0
; COMPUTE_PGM_RSRC2:USER_SGPR: 6
; COMPUTE_PGM_RSRC2:TRAP_HANDLER: 0
; COMPUTE_PGM_RSRC2:TGID_X_EN: 1
; COMPUTE_PGM_RSRC2:TGID_Y_EN: 0
; COMPUTE_PGM_RSRC2:TGID_Z_EN: 1
; COMPUTE_PGM_RSRC2:TIDIG_COMP_CNT: 0
; COMPUTE_PGM_RSRC3_GFX90A:ACCUM_OFFSET: 50
; COMPUTE_PGM_RSRC3_GFX90A:TG_SPLIT: 0
	.section	.text._ZN2ck27kernel_gemm_xdl_cshuffle_v3INS_28GridwiseGemm_xdl_cshuffle_v3INS_13tensor_layout4gemm8RowMajorENS3_11ColumnMajorES4_DF16_NS_9f8_fnuz_tEfDF16_DF16_NS_16tensor_operation12element_wise11PassThroughES9_S9_LNS7_6device18GemmSpecializationE0ELi64ELi32ELi32ELi256ELi8ELi16ELi16ELi16ELi2ELi1ENS_8SequenceIJLi32ELi2ELi1EEEENSC_IJLi1ELi0ELi2EEEESE_Li2ELi8ELi8ELb0ELi0ENSC_IJLi16ELi4ELi1EEEESE_SE_Li2ELi16ELi16ELb0ELi0ELi1ELi1ENSC_IJLi1ELi16ELi1ELi4EEEELi4ELNS_26BlockGemmPipelineSchedulerE1ELNS_24BlockGemmPipelineVersionE0EDF16_DF16_Lb0ELb0ELb0ELi0ELb0EEELb1ELNS_25InMemoryDataOperationEnumE1ELi2ELNS_10TailNumberE10EEEvNT_8ArgumentE,"axG",@progbits,_ZN2ck27kernel_gemm_xdl_cshuffle_v3INS_28GridwiseGemm_xdl_cshuffle_v3INS_13tensor_layout4gemm8RowMajorENS3_11ColumnMajorES4_DF16_NS_9f8_fnuz_tEfDF16_DF16_NS_16tensor_operation12element_wise11PassThroughES9_S9_LNS7_6device18GemmSpecializationE0ELi64ELi32ELi32ELi256ELi8ELi16ELi16ELi16ELi2ELi1ENS_8SequenceIJLi32ELi2ELi1EEEENSC_IJLi1ELi0ELi2EEEESE_Li2ELi8ELi8ELb0ELi0ENSC_IJLi16ELi4ELi1EEEESE_SE_Li2ELi16ELi16ELb0ELi0ELi1ELi1ENSC_IJLi1ELi16ELi1ELi4EEEELi4ELNS_26BlockGemmPipelineSchedulerE1ELNS_24BlockGemmPipelineVersionE0EDF16_DF16_Lb0ELb0ELb0ELi0ELb0EEELb1ELNS_25InMemoryDataOperationEnumE1ELi2ELNS_10TailNumberE10EEEvNT_8ArgumentE,comdat
	.protected	_ZN2ck27kernel_gemm_xdl_cshuffle_v3INS_28GridwiseGemm_xdl_cshuffle_v3INS_13tensor_layout4gemm8RowMajorENS3_11ColumnMajorES4_DF16_NS_9f8_fnuz_tEfDF16_DF16_NS_16tensor_operation12element_wise11PassThroughES9_S9_LNS7_6device18GemmSpecializationE0ELi64ELi32ELi32ELi256ELi8ELi16ELi16ELi16ELi2ELi1ENS_8SequenceIJLi32ELi2ELi1EEEENSC_IJLi1ELi0ELi2EEEESE_Li2ELi8ELi8ELb0ELi0ENSC_IJLi16ELi4ELi1EEEESE_SE_Li2ELi16ELi16ELb0ELi0ELi1ELi1ENSC_IJLi1ELi16ELi1ELi4EEEELi4ELNS_26BlockGemmPipelineSchedulerE1ELNS_24BlockGemmPipelineVersionE0EDF16_DF16_Lb0ELb0ELb0ELi0ELb0EEELb1ELNS_25InMemoryDataOperationEnumE1ELi2ELNS_10TailNumberE10EEEvNT_8ArgumentE ; -- Begin function _ZN2ck27kernel_gemm_xdl_cshuffle_v3INS_28GridwiseGemm_xdl_cshuffle_v3INS_13tensor_layout4gemm8RowMajorENS3_11ColumnMajorES4_DF16_NS_9f8_fnuz_tEfDF16_DF16_NS_16tensor_operation12element_wise11PassThroughES9_S9_LNS7_6device18GemmSpecializationE0ELi64ELi32ELi32ELi256ELi8ELi16ELi16ELi16ELi2ELi1ENS_8SequenceIJLi32ELi2ELi1EEEENSC_IJLi1ELi0ELi2EEEESE_Li2ELi8ELi8ELb0ELi0ENSC_IJLi16ELi4ELi1EEEESE_SE_Li2ELi16ELi16ELb0ELi0ELi1ELi1ENSC_IJLi1ELi16ELi1ELi4EEEELi4ELNS_26BlockGemmPipelineSchedulerE1ELNS_24BlockGemmPipelineVersionE0EDF16_DF16_Lb0ELb0ELb0ELi0ELb0EEELb1ELNS_25InMemoryDataOperationEnumE1ELi2ELNS_10TailNumberE10EEEvNT_8ArgumentE
	.globl	_ZN2ck27kernel_gemm_xdl_cshuffle_v3INS_28GridwiseGemm_xdl_cshuffle_v3INS_13tensor_layout4gemm8RowMajorENS3_11ColumnMajorES4_DF16_NS_9f8_fnuz_tEfDF16_DF16_NS_16tensor_operation12element_wise11PassThroughES9_S9_LNS7_6device18GemmSpecializationE0ELi64ELi32ELi32ELi256ELi8ELi16ELi16ELi16ELi2ELi1ENS_8SequenceIJLi32ELi2ELi1EEEENSC_IJLi1ELi0ELi2EEEESE_Li2ELi8ELi8ELb0ELi0ENSC_IJLi16ELi4ELi1EEEESE_SE_Li2ELi16ELi16ELb0ELi0ELi1ELi1ENSC_IJLi1ELi16ELi1ELi4EEEELi4ELNS_26BlockGemmPipelineSchedulerE1ELNS_24BlockGemmPipelineVersionE0EDF16_DF16_Lb0ELb0ELb0ELi0ELb0EEELb1ELNS_25InMemoryDataOperationEnumE1ELi2ELNS_10TailNumberE10EEEvNT_8ArgumentE
	.p2align	8
	.type	_ZN2ck27kernel_gemm_xdl_cshuffle_v3INS_28GridwiseGemm_xdl_cshuffle_v3INS_13tensor_layout4gemm8RowMajorENS3_11ColumnMajorES4_DF16_NS_9f8_fnuz_tEfDF16_DF16_NS_16tensor_operation12element_wise11PassThroughES9_S9_LNS7_6device18GemmSpecializationE0ELi64ELi32ELi32ELi256ELi8ELi16ELi16ELi16ELi2ELi1ENS_8SequenceIJLi32ELi2ELi1EEEENSC_IJLi1ELi0ELi2EEEESE_Li2ELi8ELi8ELb0ELi0ENSC_IJLi16ELi4ELi1EEEESE_SE_Li2ELi16ELi16ELb0ELi0ELi1ELi1ENSC_IJLi1ELi16ELi1ELi4EEEELi4ELNS_26BlockGemmPipelineSchedulerE1ELNS_24BlockGemmPipelineVersionE0EDF16_DF16_Lb0ELb0ELb0ELi0ELb0EEELb1ELNS_25InMemoryDataOperationEnumE1ELi2ELNS_10TailNumberE10EEEvNT_8ArgumentE,@function
_ZN2ck27kernel_gemm_xdl_cshuffle_v3INS_28GridwiseGemm_xdl_cshuffle_v3INS_13tensor_layout4gemm8RowMajorENS3_11ColumnMajorES4_DF16_NS_9f8_fnuz_tEfDF16_DF16_NS_16tensor_operation12element_wise11PassThroughES9_S9_LNS7_6device18GemmSpecializationE0ELi64ELi32ELi32ELi256ELi8ELi16ELi16ELi16ELi2ELi1ENS_8SequenceIJLi32ELi2ELi1EEEENSC_IJLi1ELi0ELi2EEEESE_Li2ELi8ELi8ELb0ELi0ENSC_IJLi16ELi4ELi1EEEESE_SE_Li2ELi16ELi16ELb0ELi0ELi1ELi1ENSC_IJLi1ELi16ELi1ELi4EEEELi4ELNS_26BlockGemmPipelineSchedulerE1ELNS_24BlockGemmPipelineVersionE0EDF16_DF16_Lb0ELb0ELb0ELi0ELb0EEELb1ELNS_25InMemoryDataOperationEnumE1ELi2ELNS_10TailNumberE10EEEvNT_8ArgumentE: ; @_ZN2ck27kernel_gemm_xdl_cshuffle_v3INS_28GridwiseGemm_xdl_cshuffle_v3INS_13tensor_layout4gemm8RowMajorENS3_11ColumnMajorES4_DF16_NS_9f8_fnuz_tEfDF16_DF16_NS_16tensor_operation12element_wise11PassThroughES9_S9_LNS7_6device18GemmSpecializationE0ELi64ELi32ELi32ELi256ELi8ELi16ELi16ELi16ELi2ELi1ENS_8SequenceIJLi32ELi2ELi1EEEENSC_IJLi1ELi0ELi2EEEESE_Li2ELi8ELi8ELb0ELi0ENSC_IJLi16ELi4ELi1EEEESE_SE_Li2ELi16ELi16ELb0ELi0ELi1ELi1ENSC_IJLi1ELi16ELi1ELi4EEEELi4ELNS_26BlockGemmPipelineSchedulerE1ELNS_24BlockGemmPipelineVersionE0EDF16_DF16_Lb0ELb0ELb0ELi0ELb0EEELb1ELNS_25InMemoryDataOperationEnumE1ELi2ELNS_10TailNumberE10EEEvNT_8ArgumentE
; %bb.0:
	s_endpgm
	.section	.rodata,"a",@progbits
	.p2align	6, 0x0
	.amdhsa_kernel _ZN2ck27kernel_gemm_xdl_cshuffle_v3INS_28GridwiseGemm_xdl_cshuffle_v3INS_13tensor_layout4gemm8RowMajorENS3_11ColumnMajorES4_DF16_NS_9f8_fnuz_tEfDF16_DF16_NS_16tensor_operation12element_wise11PassThroughES9_S9_LNS7_6device18GemmSpecializationE0ELi64ELi32ELi32ELi256ELi8ELi16ELi16ELi16ELi2ELi1ENS_8SequenceIJLi32ELi2ELi1EEEENSC_IJLi1ELi0ELi2EEEESE_Li2ELi8ELi8ELb0ELi0ENSC_IJLi16ELi4ELi1EEEESE_SE_Li2ELi16ELi16ELb0ELi0ELi1ELi1ENSC_IJLi1ELi16ELi1ELi4EEEELi4ELNS_26BlockGemmPipelineSchedulerE1ELNS_24BlockGemmPipelineVersionE0EDF16_DF16_Lb0ELb0ELb0ELi0ELb0EEELb1ELNS_25InMemoryDataOperationEnumE1ELi2ELNS_10TailNumberE10EEEvNT_8ArgumentE
		.amdhsa_group_segment_fixed_size 0
		.amdhsa_private_segment_fixed_size 0
		.amdhsa_kernarg_size 112
		.amdhsa_user_sgpr_count 6
		.amdhsa_user_sgpr_private_segment_buffer 1
		.amdhsa_user_sgpr_dispatch_ptr 0
		.amdhsa_user_sgpr_queue_ptr 0
		.amdhsa_user_sgpr_kernarg_segment_ptr 1
		.amdhsa_user_sgpr_dispatch_id 0
		.amdhsa_user_sgpr_flat_scratch_init 0
		.amdhsa_user_sgpr_kernarg_preload_length 0
		.amdhsa_user_sgpr_kernarg_preload_offset 0
		.amdhsa_user_sgpr_private_segment_size 0
		.amdhsa_uses_dynamic_stack 0
		.amdhsa_system_sgpr_private_segment_wavefront_offset 0
		.amdhsa_system_sgpr_workgroup_id_x 1
		.amdhsa_system_sgpr_workgroup_id_y 0
		.amdhsa_system_sgpr_workgroup_id_z 0
		.amdhsa_system_sgpr_workgroup_info 0
		.amdhsa_system_vgpr_workitem_id 0
		.amdhsa_next_free_vgpr 1
		.amdhsa_next_free_sgpr 0
		.amdhsa_accum_offset 4
		.amdhsa_reserve_vcc 0
		.amdhsa_reserve_flat_scratch 0
		.amdhsa_float_round_mode_32 0
		.amdhsa_float_round_mode_16_64 0
		.amdhsa_float_denorm_mode_32 3
		.amdhsa_float_denorm_mode_16_64 3
		.amdhsa_dx10_clamp 1
		.amdhsa_ieee_mode 1
		.amdhsa_fp16_overflow 0
		.amdhsa_tg_split 0
		.amdhsa_exception_fp_ieee_invalid_op 0
		.amdhsa_exception_fp_denorm_src 0
		.amdhsa_exception_fp_ieee_div_zero 0
		.amdhsa_exception_fp_ieee_overflow 0
		.amdhsa_exception_fp_ieee_underflow 0
		.amdhsa_exception_fp_ieee_inexact 0
		.amdhsa_exception_int_div_zero 0
	.end_amdhsa_kernel
	.section	.text._ZN2ck27kernel_gemm_xdl_cshuffle_v3INS_28GridwiseGemm_xdl_cshuffle_v3INS_13tensor_layout4gemm8RowMajorENS3_11ColumnMajorES4_DF16_NS_9f8_fnuz_tEfDF16_DF16_NS_16tensor_operation12element_wise11PassThroughES9_S9_LNS7_6device18GemmSpecializationE0ELi64ELi32ELi32ELi256ELi8ELi16ELi16ELi16ELi2ELi1ENS_8SequenceIJLi32ELi2ELi1EEEENSC_IJLi1ELi0ELi2EEEESE_Li2ELi8ELi8ELb0ELi0ENSC_IJLi16ELi4ELi1EEEESE_SE_Li2ELi16ELi16ELb0ELi0ELi1ELi1ENSC_IJLi1ELi16ELi1ELi4EEEELi4ELNS_26BlockGemmPipelineSchedulerE1ELNS_24BlockGemmPipelineVersionE0EDF16_DF16_Lb0ELb0ELb0ELi0ELb0EEELb1ELNS_25InMemoryDataOperationEnumE1ELi2ELNS_10TailNumberE10EEEvNT_8ArgumentE,"axG",@progbits,_ZN2ck27kernel_gemm_xdl_cshuffle_v3INS_28GridwiseGemm_xdl_cshuffle_v3INS_13tensor_layout4gemm8RowMajorENS3_11ColumnMajorES4_DF16_NS_9f8_fnuz_tEfDF16_DF16_NS_16tensor_operation12element_wise11PassThroughES9_S9_LNS7_6device18GemmSpecializationE0ELi64ELi32ELi32ELi256ELi8ELi16ELi16ELi16ELi2ELi1ENS_8SequenceIJLi32ELi2ELi1EEEENSC_IJLi1ELi0ELi2EEEESE_Li2ELi8ELi8ELb0ELi0ENSC_IJLi16ELi4ELi1EEEESE_SE_Li2ELi16ELi16ELb0ELi0ELi1ELi1ENSC_IJLi1ELi16ELi1ELi4EEEELi4ELNS_26BlockGemmPipelineSchedulerE1ELNS_24BlockGemmPipelineVersionE0EDF16_DF16_Lb0ELb0ELb0ELi0ELb0EEELb1ELNS_25InMemoryDataOperationEnumE1ELi2ELNS_10TailNumberE10EEEvNT_8ArgumentE,comdat
.Lfunc_end9:
	.size	_ZN2ck27kernel_gemm_xdl_cshuffle_v3INS_28GridwiseGemm_xdl_cshuffle_v3INS_13tensor_layout4gemm8RowMajorENS3_11ColumnMajorES4_DF16_NS_9f8_fnuz_tEfDF16_DF16_NS_16tensor_operation12element_wise11PassThroughES9_S9_LNS7_6device18GemmSpecializationE0ELi64ELi32ELi32ELi256ELi8ELi16ELi16ELi16ELi2ELi1ENS_8SequenceIJLi32ELi2ELi1EEEENSC_IJLi1ELi0ELi2EEEESE_Li2ELi8ELi8ELb0ELi0ENSC_IJLi16ELi4ELi1EEEESE_SE_Li2ELi16ELi16ELb0ELi0ELi1ELi1ENSC_IJLi1ELi16ELi1ELi4EEEELi4ELNS_26BlockGemmPipelineSchedulerE1ELNS_24BlockGemmPipelineVersionE0EDF16_DF16_Lb0ELb0ELb0ELi0ELb0EEELb1ELNS_25InMemoryDataOperationEnumE1ELi2ELNS_10TailNumberE10EEEvNT_8ArgumentE, .Lfunc_end9-_ZN2ck27kernel_gemm_xdl_cshuffle_v3INS_28GridwiseGemm_xdl_cshuffle_v3INS_13tensor_layout4gemm8RowMajorENS3_11ColumnMajorES4_DF16_NS_9f8_fnuz_tEfDF16_DF16_NS_16tensor_operation12element_wise11PassThroughES9_S9_LNS7_6device18GemmSpecializationE0ELi64ELi32ELi32ELi256ELi8ELi16ELi16ELi16ELi2ELi1ENS_8SequenceIJLi32ELi2ELi1EEEENSC_IJLi1ELi0ELi2EEEESE_Li2ELi8ELi8ELb0ELi0ENSC_IJLi16ELi4ELi1EEEESE_SE_Li2ELi16ELi16ELb0ELi0ELi1ELi1ENSC_IJLi1ELi16ELi1ELi4EEEELi4ELNS_26BlockGemmPipelineSchedulerE1ELNS_24BlockGemmPipelineVersionE0EDF16_DF16_Lb0ELb0ELb0ELi0ELb0EEELb1ELNS_25InMemoryDataOperationEnumE1ELi2ELNS_10TailNumberE10EEEvNT_8ArgumentE
                                        ; -- End function
	.section	.AMDGPU.csdata,"",@progbits
; Kernel info:
; codeLenInByte = 4
; NumSgprs: 4
; NumVgprs: 0
; NumAgprs: 0
; TotalNumVgprs: 0
; ScratchSize: 0
; MemoryBound: 0
; FloatMode: 240
; IeeeMode: 1
; LDSByteSize: 0 bytes/workgroup (compile time only)
; SGPRBlocks: 0
; VGPRBlocks: 0
; NumSGPRsForWavesPerEU: 4
; NumVGPRsForWavesPerEU: 1
; AccumOffset: 4
; Occupancy: 8
; WaveLimiterHint : 0
; COMPUTE_PGM_RSRC2:SCRATCH_EN: 0
; COMPUTE_PGM_RSRC2:USER_SGPR: 6
; COMPUTE_PGM_RSRC2:TRAP_HANDLER: 0
; COMPUTE_PGM_RSRC2:TGID_X_EN: 1
; COMPUTE_PGM_RSRC2:TGID_Y_EN: 0
; COMPUTE_PGM_RSRC2:TGID_Z_EN: 0
; COMPUTE_PGM_RSRC2:TIDIG_COMP_CNT: 0
; COMPUTE_PGM_RSRC3_GFX90A:ACCUM_OFFSET: 0
; COMPUTE_PGM_RSRC3_GFX90A:TG_SPLIT: 0
	.section	.text._ZN2ck27kernel_gemm_xdl_cshuffle_v3INS_28GridwiseGemm_xdl_cshuffle_v3INS_13tensor_layout4gemm8RowMajorENS3_11ColumnMajorES4_DF16_NS_9f8_fnuz_tEfDF16_DF16_NS_16tensor_operation12element_wise11PassThroughES9_S9_LNS7_6device18GemmSpecializationE0ELi64ELi32ELi32ELi256ELi8ELi16ELi16ELi16ELi2ELi1ENS_8SequenceIJLi32ELi2ELi1EEEENSC_IJLi1ELi0ELi2EEEESE_Li2ELi8ELi8ELb0ELi0ENSC_IJLi16ELi4ELi1EEEESE_SE_Li2ELi16ELi16ELb0ELi0ELi1ELi1ENSC_IJLi1ELi16ELi1ELi4EEEELi4ELNS_26BlockGemmPipelineSchedulerE1ELNS_24BlockGemmPipelineVersionE0EDF16_DF16_Lb0ELb0ELb0ELi0ELb0EEELb1ELNS_25InMemoryDataOperationEnumE0ELi2ELNS_10TailNumberE10EEEvNT_8ArgumentE,"axG",@progbits,_ZN2ck27kernel_gemm_xdl_cshuffle_v3INS_28GridwiseGemm_xdl_cshuffle_v3INS_13tensor_layout4gemm8RowMajorENS3_11ColumnMajorES4_DF16_NS_9f8_fnuz_tEfDF16_DF16_NS_16tensor_operation12element_wise11PassThroughES9_S9_LNS7_6device18GemmSpecializationE0ELi64ELi32ELi32ELi256ELi8ELi16ELi16ELi16ELi2ELi1ENS_8SequenceIJLi32ELi2ELi1EEEENSC_IJLi1ELi0ELi2EEEESE_Li2ELi8ELi8ELb0ELi0ENSC_IJLi16ELi4ELi1EEEESE_SE_Li2ELi16ELi16ELb0ELi0ELi1ELi1ENSC_IJLi1ELi16ELi1ELi4EEEELi4ELNS_26BlockGemmPipelineSchedulerE1ELNS_24BlockGemmPipelineVersionE0EDF16_DF16_Lb0ELb0ELb0ELi0ELb0EEELb1ELNS_25InMemoryDataOperationEnumE0ELi2ELNS_10TailNumberE10EEEvNT_8ArgumentE,comdat
	.protected	_ZN2ck27kernel_gemm_xdl_cshuffle_v3INS_28GridwiseGemm_xdl_cshuffle_v3INS_13tensor_layout4gemm8RowMajorENS3_11ColumnMajorES4_DF16_NS_9f8_fnuz_tEfDF16_DF16_NS_16tensor_operation12element_wise11PassThroughES9_S9_LNS7_6device18GemmSpecializationE0ELi64ELi32ELi32ELi256ELi8ELi16ELi16ELi16ELi2ELi1ENS_8SequenceIJLi32ELi2ELi1EEEENSC_IJLi1ELi0ELi2EEEESE_Li2ELi8ELi8ELb0ELi0ENSC_IJLi16ELi4ELi1EEEESE_SE_Li2ELi16ELi16ELb0ELi0ELi1ELi1ENSC_IJLi1ELi16ELi1ELi4EEEELi4ELNS_26BlockGemmPipelineSchedulerE1ELNS_24BlockGemmPipelineVersionE0EDF16_DF16_Lb0ELb0ELb0ELi0ELb0EEELb1ELNS_25InMemoryDataOperationEnumE0ELi2ELNS_10TailNumberE10EEEvNT_8ArgumentE ; -- Begin function _ZN2ck27kernel_gemm_xdl_cshuffle_v3INS_28GridwiseGemm_xdl_cshuffle_v3INS_13tensor_layout4gemm8RowMajorENS3_11ColumnMajorES4_DF16_NS_9f8_fnuz_tEfDF16_DF16_NS_16tensor_operation12element_wise11PassThroughES9_S9_LNS7_6device18GemmSpecializationE0ELi64ELi32ELi32ELi256ELi8ELi16ELi16ELi16ELi2ELi1ENS_8SequenceIJLi32ELi2ELi1EEEENSC_IJLi1ELi0ELi2EEEESE_Li2ELi8ELi8ELb0ELi0ENSC_IJLi16ELi4ELi1EEEESE_SE_Li2ELi16ELi16ELb0ELi0ELi1ELi1ENSC_IJLi1ELi16ELi1ELi4EEEELi4ELNS_26BlockGemmPipelineSchedulerE1ELNS_24BlockGemmPipelineVersionE0EDF16_DF16_Lb0ELb0ELb0ELi0ELb0EEELb1ELNS_25InMemoryDataOperationEnumE0ELi2ELNS_10TailNumberE10EEEvNT_8ArgumentE
	.globl	_ZN2ck27kernel_gemm_xdl_cshuffle_v3INS_28GridwiseGemm_xdl_cshuffle_v3INS_13tensor_layout4gemm8RowMajorENS3_11ColumnMajorES4_DF16_NS_9f8_fnuz_tEfDF16_DF16_NS_16tensor_operation12element_wise11PassThroughES9_S9_LNS7_6device18GemmSpecializationE0ELi64ELi32ELi32ELi256ELi8ELi16ELi16ELi16ELi2ELi1ENS_8SequenceIJLi32ELi2ELi1EEEENSC_IJLi1ELi0ELi2EEEESE_Li2ELi8ELi8ELb0ELi0ENSC_IJLi16ELi4ELi1EEEESE_SE_Li2ELi16ELi16ELb0ELi0ELi1ELi1ENSC_IJLi1ELi16ELi1ELi4EEEELi4ELNS_26BlockGemmPipelineSchedulerE1ELNS_24BlockGemmPipelineVersionE0EDF16_DF16_Lb0ELb0ELb0ELi0ELb0EEELb1ELNS_25InMemoryDataOperationEnumE0ELi2ELNS_10TailNumberE10EEEvNT_8ArgumentE
	.p2align	8
	.type	_ZN2ck27kernel_gemm_xdl_cshuffle_v3INS_28GridwiseGemm_xdl_cshuffle_v3INS_13tensor_layout4gemm8RowMajorENS3_11ColumnMajorES4_DF16_NS_9f8_fnuz_tEfDF16_DF16_NS_16tensor_operation12element_wise11PassThroughES9_S9_LNS7_6device18GemmSpecializationE0ELi64ELi32ELi32ELi256ELi8ELi16ELi16ELi16ELi2ELi1ENS_8SequenceIJLi32ELi2ELi1EEEENSC_IJLi1ELi0ELi2EEEESE_Li2ELi8ELi8ELb0ELi0ENSC_IJLi16ELi4ELi1EEEESE_SE_Li2ELi16ELi16ELb0ELi0ELi1ELi1ENSC_IJLi1ELi16ELi1ELi4EEEELi4ELNS_26BlockGemmPipelineSchedulerE1ELNS_24BlockGemmPipelineVersionE0EDF16_DF16_Lb0ELb0ELb0ELi0ELb0EEELb1ELNS_25InMemoryDataOperationEnumE0ELi2ELNS_10TailNumberE10EEEvNT_8ArgumentE,@function
_ZN2ck27kernel_gemm_xdl_cshuffle_v3INS_28GridwiseGemm_xdl_cshuffle_v3INS_13tensor_layout4gemm8RowMajorENS3_11ColumnMajorES4_DF16_NS_9f8_fnuz_tEfDF16_DF16_NS_16tensor_operation12element_wise11PassThroughES9_S9_LNS7_6device18GemmSpecializationE0ELi64ELi32ELi32ELi256ELi8ELi16ELi16ELi16ELi2ELi1ENS_8SequenceIJLi32ELi2ELi1EEEENSC_IJLi1ELi0ELi2EEEESE_Li2ELi8ELi8ELb0ELi0ENSC_IJLi16ELi4ELi1EEEESE_SE_Li2ELi16ELi16ELb0ELi0ELi1ELi1ENSC_IJLi1ELi16ELi1ELi4EEEELi4ELNS_26BlockGemmPipelineSchedulerE1ELNS_24BlockGemmPipelineVersionE0EDF16_DF16_Lb0ELb0ELb0ELi0ELb0EEELb1ELNS_25InMemoryDataOperationEnumE0ELi2ELNS_10TailNumberE10EEEvNT_8ArgumentE: ; @_ZN2ck27kernel_gemm_xdl_cshuffle_v3INS_28GridwiseGemm_xdl_cshuffle_v3INS_13tensor_layout4gemm8RowMajorENS3_11ColumnMajorES4_DF16_NS_9f8_fnuz_tEfDF16_DF16_NS_16tensor_operation12element_wise11PassThroughES9_S9_LNS7_6device18GemmSpecializationE0ELi64ELi32ELi32ELi256ELi8ELi16ELi16ELi16ELi2ELi1ENS_8SequenceIJLi32ELi2ELi1EEEENSC_IJLi1ELi0ELi2EEEESE_Li2ELi8ELi8ELb0ELi0ENSC_IJLi16ELi4ELi1EEEESE_SE_Li2ELi16ELi16ELb0ELi0ELi1ELi1ENSC_IJLi1ELi16ELi1ELi4EEEELi4ELNS_26BlockGemmPipelineSchedulerE1ELNS_24BlockGemmPipelineVersionE0EDF16_DF16_Lb0ELb0ELb0ELi0ELb0EEELb1ELNS_25InMemoryDataOperationEnumE0ELi2ELNS_10TailNumberE10EEEvNT_8ArgumentE
; %bb.0:
	s_endpgm
	.section	.rodata,"a",@progbits
	.p2align	6, 0x0
	.amdhsa_kernel _ZN2ck27kernel_gemm_xdl_cshuffle_v3INS_28GridwiseGemm_xdl_cshuffle_v3INS_13tensor_layout4gemm8RowMajorENS3_11ColumnMajorES4_DF16_NS_9f8_fnuz_tEfDF16_DF16_NS_16tensor_operation12element_wise11PassThroughES9_S9_LNS7_6device18GemmSpecializationE0ELi64ELi32ELi32ELi256ELi8ELi16ELi16ELi16ELi2ELi1ENS_8SequenceIJLi32ELi2ELi1EEEENSC_IJLi1ELi0ELi2EEEESE_Li2ELi8ELi8ELb0ELi0ENSC_IJLi16ELi4ELi1EEEESE_SE_Li2ELi16ELi16ELb0ELi0ELi1ELi1ENSC_IJLi1ELi16ELi1ELi4EEEELi4ELNS_26BlockGemmPipelineSchedulerE1ELNS_24BlockGemmPipelineVersionE0EDF16_DF16_Lb0ELb0ELb0ELi0ELb0EEELb1ELNS_25InMemoryDataOperationEnumE0ELi2ELNS_10TailNumberE10EEEvNT_8ArgumentE
		.amdhsa_group_segment_fixed_size 0
		.amdhsa_private_segment_fixed_size 0
		.amdhsa_kernarg_size 112
		.amdhsa_user_sgpr_count 6
		.amdhsa_user_sgpr_private_segment_buffer 1
		.amdhsa_user_sgpr_dispatch_ptr 0
		.amdhsa_user_sgpr_queue_ptr 0
		.amdhsa_user_sgpr_kernarg_segment_ptr 1
		.amdhsa_user_sgpr_dispatch_id 0
		.amdhsa_user_sgpr_flat_scratch_init 0
		.amdhsa_user_sgpr_kernarg_preload_length 0
		.amdhsa_user_sgpr_kernarg_preload_offset 0
		.amdhsa_user_sgpr_private_segment_size 0
		.amdhsa_uses_dynamic_stack 0
		.amdhsa_system_sgpr_private_segment_wavefront_offset 0
		.amdhsa_system_sgpr_workgroup_id_x 1
		.amdhsa_system_sgpr_workgroup_id_y 0
		.amdhsa_system_sgpr_workgroup_id_z 0
		.amdhsa_system_sgpr_workgroup_info 0
		.amdhsa_system_vgpr_workitem_id 0
		.amdhsa_next_free_vgpr 1
		.amdhsa_next_free_sgpr 0
		.amdhsa_accum_offset 4
		.amdhsa_reserve_vcc 0
		.amdhsa_reserve_flat_scratch 0
		.amdhsa_float_round_mode_32 0
		.amdhsa_float_round_mode_16_64 0
		.amdhsa_float_denorm_mode_32 3
		.amdhsa_float_denorm_mode_16_64 3
		.amdhsa_dx10_clamp 1
		.amdhsa_ieee_mode 1
		.amdhsa_fp16_overflow 0
		.amdhsa_tg_split 0
		.amdhsa_exception_fp_ieee_invalid_op 0
		.amdhsa_exception_fp_denorm_src 0
		.amdhsa_exception_fp_ieee_div_zero 0
		.amdhsa_exception_fp_ieee_overflow 0
		.amdhsa_exception_fp_ieee_underflow 0
		.amdhsa_exception_fp_ieee_inexact 0
		.amdhsa_exception_int_div_zero 0
	.end_amdhsa_kernel
	.section	.text._ZN2ck27kernel_gemm_xdl_cshuffle_v3INS_28GridwiseGemm_xdl_cshuffle_v3INS_13tensor_layout4gemm8RowMajorENS3_11ColumnMajorES4_DF16_NS_9f8_fnuz_tEfDF16_DF16_NS_16tensor_operation12element_wise11PassThroughES9_S9_LNS7_6device18GemmSpecializationE0ELi64ELi32ELi32ELi256ELi8ELi16ELi16ELi16ELi2ELi1ENS_8SequenceIJLi32ELi2ELi1EEEENSC_IJLi1ELi0ELi2EEEESE_Li2ELi8ELi8ELb0ELi0ENSC_IJLi16ELi4ELi1EEEESE_SE_Li2ELi16ELi16ELb0ELi0ELi1ELi1ENSC_IJLi1ELi16ELi1ELi4EEEELi4ELNS_26BlockGemmPipelineSchedulerE1ELNS_24BlockGemmPipelineVersionE0EDF16_DF16_Lb0ELb0ELb0ELi0ELb0EEELb1ELNS_25InMemoryDataOperationEnumE0ELi2ELNS_10TailNumberE10EEEvNT_8ArgumentE,"axG",@progbits,_ZN2ck27kernel_gemm_xdl_cshuffle_v3INS_28GridwiseGemm_xdl_cshuffle_v3INS_13tensor_layout4gemm8RowMajorENS3_11ColumnMajorES4_DF16_NS_9f8_fnuz_tEfDF16_DF16_NS_16tensor_operation12element_wise11PassThroughES9_S9_LNS7_6device18GemmSpecializationE0ELi64ELi32ELi32ELi256ELi8ELi16ELi16ELi16ELi2ELi1ENS_8SequenceIJLi32ELi2ELi1EEEENSC_IJLi1ELi0ELi2EEEESE_Li2ELi8ELi8ELb0ELi0ENSC_IJLi16ELi4ELi1EEEESE_SE_Li2ELi16ELi16ELb0ELi0ELi1ELi1ENSC_IJLi1ELi16ELi1ELi4EEEELi4ELNS_26BlockGemmPipelineSchedulerE1ELNS_24BlockGemmPipelineVersionE0EDF16_DF16_Lb0ELb0ELb0ELi0ELb0EEELb1ELNS_25InMemoryDataOperationEnumE0ELi2ELNS_10TailNumberE10EEEvNT_8ArgumentE,comdat
.Lfunc_end10:
	.size	_ZN2ck27kernel_gemm_xdl_cshuffle_v3INS_28GridwiseGemm_xdl_cshuffle_v3INS_13tensor_layout4gemm8RowMajorENS3_11ColumnMajorES4_DF16_NS_9f8_fnuz_tEfDF16_DF16_NS_16tensor_operation12element_wise11PassThroughES9_S9_LNS7_6device18GemmSpecializationE0ELi64ELi32ELi32ELi256ELi8ELi16ELi16ELi16ELi2ELi1ENS_8SequenceIJLi32ELi2ELi1EEEENSC_IJLi1ELi0ELi2EEEESE_Li2ELi8ELi8ELb0ELi0ENSC_IJLi16ELi4ELi1EEEESE_SE_Li2ELi16ELi16ELb0ELi0ELi1ELi1ENSC_IJLi1ELi16ELi1ELi4EEEELi4ELNS_26BlockGemmPipelineSchedulerE1ELNS_24BlockGemmPipelineVersionE0EDF16_DF16_Lb0ELb0ELb0ELi0ELb0EEELb1ELNS_25InMemoryDataOperationEnumE0ELi2ELNS_10TailNumberE10EEEvNT_8ArgumentE, .Lfunc_end10-_ZN2ck27kernel_gemm_xdl_cshuffle_v3INS_28GridwiseGemm_xdl_cshuffle_v3INS_13tensor_layout4gemm8RowMajorENS3_11ColumnMajorES4_DF16_NS_9f8_fnuz_tEfDF16_DF16_NS_16tensor_operation12element_wise11PassThroughES9_S9_LNS7_6device18GemmSpecializationE0ELi64ELi32ELi32ELi256ELi8ELi16ELi16ELi16ELi2ELi1ENS_8SequenceIJLi32ELi2ELi1EEEENSC_IJLi1ELi0ELi2EEEESE_Li2ELi8ELi8ELb0ELi0ENSC_IJLi16ELi4ELi1EEEESE_SE_Li2ELi16ELi16ELb0ELi0ELi1ELi1ENSC_IJLi1ELi16ELi1ELi4EEEELi4ELNS_26BlockGemmPipelineSchedulerE1ELNS_24BlockGemmPipelineVersionE0EDF16_DF16_Lb0ELb0ELb0ELi0ELb0EEELb1ELNS_25InMemoryDataOperationEnumE0ELi2ELNS_10TailNumberE10EEEvNT_8ArgumentE
                                        ; -- End function
	.section	.AMDGPU.csdata,"",@progbits
; Kernel info:
; codeLenInByte = 4
; NumSgprs: 4
; NumVgprs: 0
; NumAgprs: 0
; TotalNumVgprs: 0
; ScratchSize: 0
; MemoryBound: 0
; FloatMode: 240
; IeeeMode: 1
; LDSByteSize: 0 bytes/workgroup (compile time only)
; SGPRBlocks: 0
; VGPRBlocks: 0
; NumSGPRsForWavesPerEU: 4
; NumVGPRsForWavesPerEU: 1
; AccumOffset: 4
; Occupancy: 8
; WaveLimiterHint : 0
; COMPUTE_PGM_RSRC2:SCRATCH_EN: 0
; COMPUTE_PGM_RSRC2:USER_SGPR: 6
; COMPUTE_PGM_RSRC2:TRAP_HANDLER: 0
; COMPUTE_PGM_RSRC2:TGID_X_EN: 1
; COMPUTE_PGM_RSRC2:TGID_Y_EN: 0
; COMPUTE_PGM_RSRC2:TGID_Z_EN: 0
; COMPUTE_PGM_RSRC2:TIDIG_COMP_CNT: 0
; COMPUTE_PGM_RSRC3_GFX90A:ACCUM_OFFSET: 0
; COMPUTE_PGM_RSRC3_GFX90A:TG_SPLIT: 0
	.section	.text._ZN2ck27kernel_gemm_xdl_cshuffle_v3INS_28GridwiseGemm_xdl_cshuffle_v3INS_13tensor_layout4gemm8RowMajorENS3_11ColumnMajorES4_DF16_NS_9f8_fnuz_tEfDF16_DF16_NS_16tensor_operation12element_wise11PassThroughES9_S9_LNS7_6device18GemmSpecializationE0ELi64ELi32ELi32ELi256ELi8ELi16ELi16ELi16ELi2ELi1ENS_8SequenceIJLi32ELi2ELi1EEEENSC_IJLi1ELi0ELi2EEEESE_Li2ELi8ELi8ELb0ELi0ENSC_IJLi16ELi4ELi1EEEESE_SE_Li2ELi16ELi16ELb0ELi0ELi1ELi1ENSC_IJLi1ELi16ELi1ELi4EEEELi4ELNS_26BlockGemmPipelineSchedulerE1ELNS_24BlockGemmPipelineVersionE0EDF16_DF16_Lb0ELb0ELb0ELi0ELb0EEELb0ELNS_25InMemoryDataOperationEnumE1ELi2ELNS_10TailNumberE10EEEvNT_8ArgumentE,"axG",@progbits,_ZN2ck27kernel_gemm_xdl_cshuffle_v3INS_28GridwiseGemm_xdl_cshuffle_v3INS_13tensor_layout4gemm8RowMajorENS3_11ColumnMajorES4_DF16_NS_9f8_fnuz_tEfDF16_DF16_NS_16tensor_operation12element_wise11PassThroughES9_S9_LNS7_6device18GemmSpecializationE0ELi64ELi32ELi32ELi256ELi8ELi16ELi16ELi16ELi2ELi1ENS_8SequenceIJLi32ELi2ELi1EEEENSC_IJLi1ELi0ELi2EEEESE_Li2ELi8ELi8ELb0ELi0ENSC_IJLi16ELi4ELi1EEEESE_SE_Li2ELi16ELi16ELb0ELi0ELi1ELi1ENSC_IJLi1ELi16ELi1ELi4EEEELi4ELNS_26BlockGemmPipelineSchedulerE1ELNS_24BlockGemmPipelineVersionE0EDF16_DF16_Lb0ELb0ELb0ELi0ELb0EEELb0ELNS_25InMemoryDataOperationEnumE1ELi2ELNS_10TailNumberE10EEEvNT_8ArgumentE,comdat
	.protected	_ZN2ck27kernel_gemm_xdl_cshuffle_v3INS_28GridwiseGemm_xdl_cshuffle_v3INS_13tensor_layout4gemm8RowMajorENS3_11ColumnMajorES4_DF16_NS_9f8_fnuz_tEfDF16_DF16_NS_16tensor_operation12element_wise11PassThroughES9_S9_LNS7_6device18GemmSpecializationE0ELi64ELi32ELi32ELi256ELi8ELi16ELi16ELi16ELi2ELi1ENS_8SequenceIJLi32ELi2ELi1EEEENSC_IJLi1ELi0ELi2EEEESE_Li2ELi8ELi8ELb0ELi0ENSC_IJLi16ELi4ELi1EEEESE_SE_Li2ELi16ELi16ELb0ELi0ELi1ELi1ENSC_IJLi1ELi16ELi1ELi4EEEELi4ELNS_26BlockGemmPipelineSchedulerE1ELNS_24BlockGemmPipelineVersionE0EDF16_DF16_Lb0ELb0ELb0ELi0ELb0EEELb0ELNS_25InMemoryDataOperationEnumE1ELi2ELNS_10TailNumberE10EEEvNT_8ArgumentE ; -- Begin function _ZN2ck27kernel_gemm_xdl_cshuffle_v3INS_28GridwiseGemm_xdl_cshuffle_v3INS_13tensor_layout4gemm8RowMajorENS3_11ColumnMajorES4_DF16_NS_9f8_fnuz_tEfDF16_DF16_NS_16tensor_operation12element_wise11PassThroughES9_S9_LNS7_6device18GemmSpecializationE0ELi64ELi32ELi32ELi256ELi8ELi16ELi16ELi16ELi2ELi1ENS_8SequenceIJLi32ELi2ELi1EEEENSC_IJLi1ELi0ELi2EEEESE_Li2ELi8ELi8ELb0ELi0ENSC_IJLi16ELi4ELi1EEEESE_SE_Li2ELi16ELi16ELb0ELi0ELi1ELi1ENSC_IJLi1ELi16ELi1ELi4EEEELi4ELNS_26BlockGemmPipelineSchedulerE1ELNS_24BlockGemmPipelineVersionE0EDF16_DF16_Lb0ELb0ELb0ELi0ELb0EEELb0ELNS_25InMemoryDataOperationEnumE1ELi2ELNS_10TailNumberE10EEEvNT_8ArgumentE
	.globl	_ZN2ck27kernel_gemm_xdl_cshuffle_v3INS_28GridwiseGemm_xdl_cshuffle_v3INS_13tensor_layout4gemm8RowMajorENS3_11ColumnMajorES4_DF16_NS_9f8_fnuz_tEfDF16_DF16_NS_16tensor_operation12element_wise11PassThroughES9_S9_LNS7_6device18GemmSpecializationE0ELi64ELi32ELi32ELi256ELi8ELi16ELi16ELi16ELi2ELi1ENS_8SequenceIJLi32ELi2ELi1EEEENSC_IJLi1ELi0ELi2EEEESE_Li2ELi8ELi8ELb0ELi0ENSC_IJLi16ELi4ELi1EEEESE_SE_Li2ELi16ELi16ELb0ELi0ELi1ELi1ENSC_IJLi1ELi16ELi1ELi4EEEELi4ELNS_26BlockGemmPipelineSchedulerE1ELNS_24BlockGemmPipelineVersionE0EDF16_DF16_Lb0ELb0ELb0ELi0ELb0EEELb0ELNS_25InMemoryDataOperationEnumE1ELi2ELNS_10TailNumberE10EEEvNT_8ArgumentE
	.p2align	8
	.type	_ZN2ck27kernel_gemm_xdl_cshuffle_v3INS_28GridwiseGemm_xdl_cshuffle_v3INS_13tensor_layout4gemm8RowMajorENS3_11ColumnMajorES4_DF16_NS_9f8_fnuz_tEfDF16_DF16_NS_16tensor_operation12element_wise11PassThroughES9_S9_LNS7_6device18GemmSpecializationE0ELi64ELi32ELi32ELi256ELi8ELi16ELi16ELi16ELi2ELi1ENS_8SequenceIJLi32ELi2ELi1EEEENSC_IJLi1ELi0ELi2EEEESE_Li2ELi8ELi8ELb0ELi0ENSC_IJLi16ELi4ELi1EEEESE_SE_Li2ELi16ELi16ELb0ELi0ELi1ELi1ENSC_IJLi1ELi16ELi1ELi4EEEELi4ELNS_26BlockGemmPipelineSchedulerE1ELNS_24BlockGemmPipelineVersionE0EDF16_DF16_Lb0ELb0ELb0ELi0ELb0EEELb0ELNS_25InMemoryDataOperationEnumE1ELi2ELNS_10TailNumberE10EEEvNT_8ArgumentE,@function
_ZN2ck27kernel_gemm_xdl_cshuffle_v3INS_28GridwiseGemm_xdl_cshuffle_v3INS_13tensor_layout4gemm8RowMajorENS3_11ColumnMajorES4_DF16_NS_9f8_fnuz_tEfDF16_DF16_NS_16tensor_operation12element_wise11PassThroughES9_S9_LNS7_6device18GemmSpecializationE0ELi64ELi32ELi32ELi256ELi8ELi16ELi16ELi16ELi2ELi1ENS_8SequenceIJLi32ELi2ELi1EEEENSC_IJLi1ELi0ELi2EEEESE_Li2ELi8ELi8ELb0ELi0ENSC_IJLi16ELi4ELi1EEEESE_SE_Li2ELi16ELi16ELb0ELi0ELi1ELi1ENSC_IJLi1ELi16ELi1ELi4EEEELi4ELNS_26BlockGemmPipelineSchedulerE1ELNS_24BlockGemmPipelineVersionE0EDF16_DF16_Lb0ELb0ELb0ELi0ELb0EEELb0ELNS_25InMemoryDataOperationEnumE1ELi2ELNS_10TailNumberE10EEEvNT_8ArgumentE: ; @_ZN2ck27kernel_gemm_xdl_cshuffle_v3INS_28GridwiseGemm_xdl_cshuffle_v3INS_13tensor_layout4gemm8RowMajorENS3_11ColumnMajorES4_DF16_NS_9f8_fnuz_tEfDF16_DF16_NS_16tensor_operation12element_wise11PassThroughES9_S9_LNS7_6device18GemmSpecializationE0ELi64ELi32ELi32ELi256ELi8ELi16ELi16ELi16ELi2ELi1ENS_8SequenceIJLi32ELi2ELi1EEEENSC_IJLi1ELi0ELi2EEEESE_Li2ELi8ELi8ELb0ELi0ENSC_IJLi16ELi4ELi1EEEESE_SE_Li2ELi16ELi16ELb0ELi0ELi1ELi1ENSC_IJLi1ELi16ELi1ELi4EEEELi4ELNS_26BlockGemmPipelineSchedulerE1ELNS_24BlockGemmPipelineVersionE0EDF16_DF16_Lb0ELb0ELb0ELi0ELb0EEELb0ELNS_25InMemoryDataOperationEnumE1ELi2ELNS_10TailNumberE10EEEvNT_8ArgumentE
; %bb.0:
	s_endpgm
	.section	.rodata,"a",@progbits
	.p2align	6, 0x0
	.amdhsa_kernel _ZN2ck27kernel_gemm_xdl_cshuffle_v3INS_28GridwiseGemm_xdl_cshuffle_v3INS_13tensor_layout4gemm8RowMajorENS3_11ColumnMajorES4_DF16_NS_9f8_fnuz_tEfDF16_DF16_NS_16tensor_operation12element_wise11PassThroughES9_S9_LNS7_6device18GemmSpecializationE0ELi64ELi32ELi32ELi256ELi8ELi16ELi16ELi16ELi2ELi1ENS_8SequenceIJLi32ELi2ELi1EEEENSC_IJLi1ELi0ELi2EEEESE_Li2ELi8ELi8ELb0ELi0ENSC_IJLi16ELi4ELi1EEEESE_SE_Li2ELi16ELi16ELb0ELi0ELi1ELi1ENSC_IJLi1ELi16ELi1ELi4EEEELi4ELNS_26BlockGemmPipelineSchedulerE1ELNS_24BlockGemmPipelineVersionE0EDF16_DF16_Lb0ELb0ELb0ELi0ELb0EEELb0ELNS_25InMemoryDataOperationEnumE1ELi2ELNS_10TailNumberE10EEEvNT_8ArgumentE
		.amdhsa_group_segment_fixed_size 0
		.amdhsa_private_segment_fixed_size 0
		.amdhsa_kernarg_size 112
		.amdhsa_user_sgpr_count 6
		.amdhsa_user_sgpr_private_segment_buffer 1
		.amdhsa_user_sgpr_dispatch_ptr 0
		.amdhsa_user_sgpr_queue_ptr 0
		.amdhsa_user_sgpr_kernarg_segment_ptr 1
		.amdhsa_user_sgpr_dispatch_id 0
		.amdhsa_user_sgpr_flat_scratch_init 0
		.amdhsa_user_sgpr_kernarg_preload_length 0
		.amdhsa_user_sgpr_kernarg_preload_offset 0
		.amdhsa_user_sgpr_private_segment_size 0
		.amdhsa_uses_dynamic_stack 0
		.amdhsa_system_sgpr_private_segment_wavefront_offset 0
		.amdhsa_system_sgpr_workgroup_id_x 1
		.amdhsa_system_sgpr_workgroup_id_y 0
		.amdhsa_system_sgpr_workgroup_id_z 0
		.amdhsa_system_sgpr_workgroup_info 0
		.amdhsa_system_vgpr_workitem_id 0
		.amdhsa_next_free_vgpr 1
		.amdhsa_next_free_sgpr 0
		.amdhsa_accum_offset 4
		.amdhsa_reserve_vcc 0
		.amdhsa_reserve_flat_scratch 0
		.amdhsa_float_round_mode_32 0
		.amdhsa_float_round_mode_16_64 0
		.amdhsa_float_denorm_mode_32 3
		.amdhsa_float_denorm_mode_16_64 3
		.amdhsa_dx10_clamp 1
		.amdhsa_ieee_mode 1
		.amdhsa_fp16_overflow 0
		.amdhsa_tg_split 0
		.amdhsa_exception_fp_ieee_invalid_op 0
		.amdhsa_exception_fp_denorm_src 0
		.amdhsa_exception_fp_ieee_div_zero 0
		.amdhsa_exception_fp_ieee_overflow 0
		.amdhsa_exception_fp_ieee_underflow 0
		.amdhsa_exception_fp_ieee_inexact 0
		.amdhsa_exception_int_div_zero 0
	.end_amdhsa_kernel
	.section	.text._ZN2ck27kernel_gemm_xdl_cshuffle_v3INS_28GridwiseGemm_xdl_cshuffle_v3INS_13tensor_layout4gemm8RowMajorENS3_11ColumnMajorES4_DF16_NS_9f8_fnuz_tEfDF16_DF16_NS_16tensor_operation12element_wise11PassThroughES9_S9_LNS7_6device18GemmSpecializationE0ELi64ELi32ELi32ELi256ELi8ELi16ELi16ELi16ELi2ELi1ENS_8SequenceIJLi32ELi2ELi1EEEENSC_IJLi1ELi0ELi2EEEESE_Li2ELi8ELi8ELb0ELi0ENSC_IJLi16ELi4ELi1EEEESE_SE_Li2ELi16ELi16ELb0ELi0ELi1ELi1ENSC_IJLi1ELi16ELi1ELi4EEEELi4ELNS_26BlockGemmPipelineSchedulerE1ELNS_24BlockGemmPipelineVersionE0EDF16_DF16_Lb0ELb0ELb0ELi0ELb0EEELb0ELNS_25InMemoryDataOperationEnumE1ELi2ELNS_10TailNumberE10EEEvNT_8ArgumentE,"axG",@progbits,_ZN2ck27kernel_gemm_xdl_cshuffle_v3INS_28GridwiseGemm_xdl_cshuffle_v3INS_13tensor_layout4gemm8RowMajorENS3_11ColumnMajorES4_DF16_NS_9f8_fnuz_tEfDF16_DF16_NS_16tensor_operation12element_wise11PassThroughES9_S9_LNS7_6device18GemmSpecializationE0ELi64ELi32ELi32ELi256ELi8ELi16ELi16ELi16ELi2ELi1ENS_8SequenceIJLi32ELi2ELi1EEEENSC_IJLi1ELi0ELi2EEEESE_Li2ELi8ELi8ELb0ELi0ENSC_IJLi16ELi4ELi1EEEESE_SE_Li2ELi16ELi16ELb0ELi0ELi1ELi1ENSC_IJLi1ELi16ELi1ELi4EEEELi4ELNS_26BlockGemmPipelineSchedulerE1ELNS_24BlockGemmPipelineVersionE0EDF16_DF16_Lb0ELb0ELb0ELi0ELb0EEELb0ELNS_25InMemoryDataOperationEnumE1ELi2ELNS_10TailNumberE10EEEvNT_8ArgumentE,comdat
.Lfunc_end11:
	.size	_ZN2ck27kernel_gemm_xdl_cshuffle_v3INS_28GridwiseGemm_xdl_cshuffle_v3INS_13tensor_layout4gemm8RowMajorENS3_11ColumnMajorES4_DF16_NS_9f8_fnuz_tEfDF16_DF16_NS_16tensor_operation12element_wise11PassThroughES9_S9_LNS7_6device18GemmSpecializationE0ELi64ELi32ELi32ELi256ELi8ELi16ELi16ELi16ELi2ELi1ENS_8SequenceIJLi32ELi2ELi1EEEENSC_IJLi1ELi0ELi2EEEESE_Li2ELi8ELi8ELb0ELi0ENSC_IJLi16ELi4ELi1EEEESE_SE_Li2ELi16ELi16ELb0ELi0ELi1ELi1ENSC_IJLi1ELi16ELi1ELi4EEEELi4ELNS_26BlockGemmPipelineSchedulerE1ELNS_24BlockGemmPipelineVersionE0EDF16_DF16_Lb0ELb0ELb0ELi0ELb0EEELb0ELNS_25InMemoryDataOperationEnumE1ELi2ELNS_10TailNumberE10EEEvNT_8ArgumentE, .Lfunc_end11-_ZN2ck27kernel_gemm_xdl_cshuffle_v3INS_28GridwiseGemm_xdl_cshuffle_v3INS_13tensor_layout4gemm8RowMajorENS3_11ColumnMajorES4_DF16_NS_9f8_fnuz_tEfDF16_DF16_NS_16tensor_operation12element_wise11PassThroughES9_S9_LNS7_6device18GemmSpecializationE0ELi64ELi32ELi32ELi256ELi8ELi16ELi16ELi16ELi2ELi1ENS_8SequenceIJLi32ELi2ELi1EEEENSC_IJLi1ELi0ELi2EEEESE_Li2ELi8ELi8ELb0ELi0ENSC_IJLi16ELi4ELi1EEEESE_SE_Li2ELi16ELi16ELb0ELi0ELi1ELi1ENSC_IJLi1ELi16ELi1ELi4EEEELi4ELNS_26BlockGemmPipelineSchedulerE1ELNS_24BlockGemmPipelineVersionE0EDF16_DF16_Lb0ELb0ELb0ELi0ELb0EEELb0ELNS_25InMemoryDataOperationEnumE1ELi2ELNS_10TailNumberE10EEEvNT_8ArgumentE
                                        ; -- End function
	.section	.AMDGPU.csdata,"",@progbits
; Kernel info:
; codeLenInByte = 4
; NumSgprs: 4
; NumVgprs: 0
; NumAgprs: 0
; TotalNumVgprs: 0
; ScratchSize: 0
; MemoryBound: 0
; FloatMode: 240
; IeeeMode: 1
; LDSByteSize: 0 bytes/workgroup (compile time only)
; SGPRBlocks: 0
; VGPRBlocks: 0
; NumSGPRsForWavesPerEU: 4
; NumVGPRsForWavesPerEU: 1
; AccumOffset: 4
; Occupancy: 8
; WaveLimiterHint : 0
; COMPUTE_PGM_RSRC2:SCRATCH_EN: 0
; COMPUTE_PGM_RSRC2:USER_SGPR: 6
; COMPUTE_PGM_RSRC2:TRAP_HANDLER: 0
; COMPUTE_PGM_RSRC2:TGID_X_EN: 1
; COMPUTE_PGM_RSRC2:TGID_Y_EN: 0
; COMPUTE_PGM_RSRC2:TGID_Z_EN: 0
; COMPUTE_PGM_RSRC2:TIDIG_COMP_CNT: 0
; COMPUTE_PGM_RSRC3_GFX90A:ACCUM_OFFSET: 0
; COMPUTE_PGM_RSRC3_GFX90A:TG_SPLIT: 0
	.section	.text._ZN2ck27kernel_gemm_xdl_cshuffle_v3INS_28GridwiseGemm_xdl_cshuffle_v3INS_13tensor_layout4gemm8RowMajorENS3_11ColumnMajorES4_DF16_NS_9f8_fnuz_tEfDF16_DF16_NS_16tensor_operation12element_wise11PassThroughES9_S9_LNS7_6device18GemmSpecializationE0ELi64ELi32ELi32ELi256ELi8ELi16ELi16ELi16ELi2ELi1ENS_8SequenceIJLi32ELi2ELi1EEEENSC_IJLi1ELi0ELi2EEEESE_Li2ELi8ELi8ELb0ELi0ENSC_IJLi16ELi4ELi1EEEESE_SE_Li2ELi16ELi16ELb0ELi0ELi1ELi1ENSC_IJLi1ELi16ELi1ELi4EEEELi4ELNS_26BlockGemmPipelineSchedulerE1ELNS_24BlockGemmPipelineVersionE0EDF16_DF16_Lb0ELb0ELb0ELi0ELb0EEELb0ELNS_25InMemoryDataOperationEnumE0ELi2ELNS_10TailNumberE10EEEvNT_8ArgumentE,"axG",@progbits,_ZN2ck27kernel_gemm_xdl_cshuffle_v3INS_28GridwiseGemm_xdl_cshuffle_v3INS_13tensor_layout4gemm8RowMajorENS3_11ColumnMajorES4_DF16_NS_9f8_fnuz_tEfDF16_DF16_NS_16tensor_operation12element_wise11PassThroughES9_S9_LNS7_6device18GemmSpecializationE0ELi64ELi32ELi32ELi256ELi8ELi16ELi16ELi16ELi2ELi1ENS_8SequenceIJLi32ELi2ELi1EEEENSC_IJLi1ELi0ELi2EEEESE_Li2ELi8ELi8ELb0ELi0ENSC_IJLi16ELi4ELi1EEEESE_SE_Li2ELi16ELi16ELb0ELi0ELi1ELi1ENSC_IJLi1ELi16ELi1ELi4EEEELi4ELNS_26BlockGemmPipelineSchedulerE1ELNS_24BlockGemmPipelineVersionE0EDF16_DF16_Lb0ELb0ELb0ELi0ELb0EEELb0ELNS_25InMemoryDataOperationEnumE0ELi2ELNS_10TailNumberE10EEEvNT_8ArgumentE,comdat
	.protected	_ZN2ck27kernel_gemm_xdl_cshuffle_v3INS_28GridwiseGemm_xdl_cshuffle_v3INS_13tensor_layout4gemm8RowMajorENS3_11ColumnMajorES4_DF16_NS_9f8_fnuz_tEfDF16_DF16_NS_16tensor_operation12element_wise11PassThroughES9_S9_LNS7_6device18GemmSpecializationE0ELi64ELi32ELi32ELi256ELi8ELi16ELi16ELi16ELi2ELi1ENS_8SequenceIJLi32ELi2ELi1EEEENSC_IJLi1ELi0ELi2EEEESE_Li2ELi8ELi8ELb0ELi0ENSC_IJLi16ELi4ELi1EEEESE_SE_Li2ELi16ELi16ELb0ELi0ELi1ELi1ENSC_IJLi1ELi16ELi1ELi4EEEELi4ELNS_26BlockGemmPipelineSchedulerE1ELNS_24BlockGemmPipelineVersionE0EDF16_DF16_Lb0ELb0ELb0ELi0ELb0EEELb0ELNS_25InMemoryDataOperationEnumE0ELi2ELNS_10TailNumberE10EEEvNT_8ArgumentE ; -- Begin function _ZN2ck27kernel_gemm_xdl_cshuffle_v3INS_28GridwiseGemm_xdl_cshuffle_v3INS_13tensor_layout4gemm8RowMajorENS3_11ColumnMajorES4_DF16_NS_9f8_fnuz_tEfDF16_DF16_NS_16tensor_operation12element_wise11PassThroughES9_S9_LNS7_6device18GemmSpecializationE0ELi64ELi32ELi32ELi256ELi8ELi16ELi16ELi16ELi2ELi1ENS_8SequenceIJLi32ELi2ELi1EEEENSC_IJLi1ELi0ELi2EEEESE_Li2ELi8ELi8ELb0ELi0ENSC_IJLi16ELi4ELi1EEEESE_SE_Li2ELi16ELi16ELb0ELi0ELi1ELi1ENSC_IJLi1ELi16ELi1ELi4EEEELi4ELNS_26BlockGemmPipelineSchedulerE1ELNS_24BlockGemmPipelineVersionE0EDF16_DF16_Lb0ELb0ELb0ELi0ELb0EEELb0ELNS_25InMemoryDataOperationEnumE0ELi2ELNS_10TailNumberE10EEEvNT_8ArgumentE
	.globl	_ZN2ck27kernel_gemm_xdl_cshuffle_v3INS_28GridwiseGemm_xdl_cshuffle_v3INS_13tensor_layout4gemm8RowMajorENS3_11ColumnMajorES4_DF16_NS_9f8_fnuz_tEfDF16_DF16_NS_16tensor_operation12element_wise11PassThroughES9_S9_LNS7_6device18GemmSpecializationE0ELi64ELi32ELi32ELi256ELi8ELi16ELi16ELi16ELi2ELi1ENS_8SequenceIJLi32ELi2ELi1EEEENSC_IJLi1ELi0ELi2EEEESE_Li2ELi8ELi8ELb0ELi0ENSC_IJLi16ELi4ELi1EEEESE_SE_Li2ELi16ELi16ELb0ELi0ELi1ELi1ENSC_IJLi1ELi16ELi1ELi4EEEELi4ELNS_26BlockGemmPipelineSchedulerE1ELNS_24BlockGemmPipelineVersionE0EDF16_DF16_Lb0ELb0ELb0ELi0ELb0EEELb0ELNS_25InMemoryDataOperationEnumE0ELi2ELNS_10TailNumberE10EEEvNT_8ArgumentE
	.p2align	8
	.type	_ZN2ck27kernel_gemm_xdl_cshuffle_v3INS_28GridwiseGemm_xdl_cshuffle_v3INS_13tensor_layout4gemm8RowMajorENS3_11ColumnMajorES4_DF16_NS_9f8_fnuz_tEfDF16_DF16_NS_16tensor_operation12element_wise11PassThroughES9_S9_LNS7_6device18GemmSpecializationE0ELi64ELi32ELi32ELi256ELi8ELi16ELi16ELi16ELi2ELi1ENS_8SequenceIJLi32ELi2ELi1EEEENSC_IJLi1ELi0ELi2EEEESE_Li2ELi8ELi8ELb0ELi0ENSC_IJLi16ELi4ELi1EEEESE_SE_Li2ELi16ELi16ELb0ELi0ELi1ELi1ENSC_IJLi1ELi16ELi1ELi4EEEELi4ELNS_26BlockGemmPipelineSchedulerE1ELNS_24BlockGemmPipelineVersionE0EDF16_DF16_Lb0ELb0ELb0ELi0ELb0EEELb0ELNS_25InMemoryDataOperationEnumE0ELi2ELNS_10TailNumberE10EEEvNT_8ArgumentE,@function
_ZN2ck27kernel_gemm_xdl_cshuffle_v3INS_28GridwiseGemm_xdl_cshuffle_v3INS_13tensor_layout4gemm8RowMajorENS3_11ColumnMajorES4_DF16_NS_9f8_fnuz_tEfDF16_DF16_NS_16tensor_operation12element_wise11PassThroughES9_S9_LNS7_6device18GemmSpecializationE0ELi64ELi32ELi32ELi256ELi8ELi16ELi16ELi16ELi2ELi1ENS_8SequenceIJLi32ELi2ELi1EEEENSC_IJLi1ELi0ELi2EEEESE_Li2ELi8ELi8ELb0ELi0ENSC_IJLi16ELi4ELi1EEEESE_SE_Li2ELi16ELi16ELb0ELi0ELi1ELi1ENSC_IJLi1ELi16ELi1ELi4EEEELi4ELNS_26BlockGemmPipelineSchedulerE1ELNS_24BlockGemmPipelineVersionE0EDF16_DF16_Lb0ELb0ELb0ELi0ELb0EEELb0ELNS_25InMemoryDataOperationEnumE0ELi2ELNS_10TailNumberE10EEEvNT_8ArgumentE: ; @_ZN2ck27kernel_gemm_xdl_cshuffle_v3INS_28GridwiseGemm_xdl_cshuffle_v3INS_13tensor_layout4gemm8RowMajorENS3_11ColumnMajorES4_DF16_NS_9f8_fnuz_tEfDF16_DF16_NS_16tensor_operation12element_wise11PassThroughES9_S9_LNS7_6device18GemmSpecializationE0ELi64ELi32ELi32ELi256ELi8ELi16ELi16ELi16ELi2ELi1ENS_8SequenceIJLi32ELi2ELi1EEEENSC_IJLi1ELi0ELi2EEEESE_Li2ELi8ELi8ELb0ELi0ENSC_IJLi16ELi4ELi1EEEESE_SE_Li2ELi16ELi16ELb0ELi0ELi1ELi1ENSC_IJLi1ELi16ELi1ELi4EEEELi4ELNS_26BlockGemmPipelineSchedulerE1ELNS_24BlockGemmPipelineVersionE0EDF16_DF16_Lb0ELb0ELb0ELi0ELb0EEELb0ELNS_25InMemoryDataOperationEnumE0ELi2ELNS_10TailNumberE10EEEvNT_8ArgumentE
; %bb.0:
	s_endpgm
	.section	.rodata,"a",@progbits
	.p2align	6, 0x0
	.amdhsa_kernel _ZN2ck27kernel_gemm_xdl_cshuffle_v3INS_28GridwiseGemm_xdl_cshuffle_v3INS_13tensor_layout4gemm8RowMajorENS3_11ColumnMajorES4_DF16_NS_9f8_fnuz_tEfDF16_DF16_NS_16tensor_operation12element_wise11PassThroughES9_S9_LNS7_6device18GemmSpecializationE0ELi64ELi32ELi32ELi256ELi8ELi16ELi16ELi16ELi2ELi1ENS_8SequenceIJLi32ELi2ELi1EEEENSC_IJLi1ELi0ELi2EEEESE_Li2ELi8ELi8ELb0ELi0ENSC_IJLi16ELi4ELi1EEEESE_SE_Li2ELi16ELi16ELb0ELi0ELi1ELi1ENSC_IJLi1ELi16ELi1ELi4EEEELi4ELNS_26BlockGemmPipelineSchedulerE1ELNS_24BlockGemmPipelineVersionE0EDF16_DF16_Lb0ELb0ELb0ELi0ELb0EEELb0ELNS_25InMemoryDataOperationEnumE0ELi2ELNS_10TailNumberE10EEEvNT_8ArgumentE
		.amdhsa_group_segment_fixed_size 0
		.amdhsa_private_segment_fixed_size 0
		.amdhsa_kernarg_size 112
		.amdhsa_user_sgpr_count 6
		.amdhsa_user_sgpr_private_segment_buffer 1
		.amdhsa_user_sgpr_dispatch_ptr 0
		.amdhsa_user_sgpr_queue_ptr 0
		.amdhsa_user_sgpr_kernarg_segment_ptr 1
		.amdhsa_user_sgpr_dispatch_id 0
		.amdhsa_user_sgpr_flat_scratch_init 0
		.amdhsa_user_sgpr_kernarg_preload_length 0
		.amdhsa_user_sgpr_kernarg_preload_offset 0
		.amdhsa_user_sgpr_private_segment_size 0
		.amdhsa_uses_dynamic_stack 0
		.amdhsa_system_sgpr_private_segment_wavefront_offset 0
		.amdhsa_system_sgpr_workgroup_id_x 1
		.amdhsa_system_sgpr_workgroup_id_y 0
		.amdhsa_system_sgpr_workgroup_id_z 0
		.amdhsa_system_sgpr_workgroup_info 0
		.amdhsa_system_vgpr_workitem_id 0
		.amdhsa_next_free_vgpr 1
		.amdhsa_next_free_sgpr 0
		.amdhsa_accum_offset 4
		.amdhsa_reserve_vcc 0
		.amdhsa_reserve_flat_scratch 0
		.amdhsa_float_round_mode_32 0
		.amdhsa_float_round_mode_16_64 0
		.amdhsa_float_denorm_mode_32 3
		.amdhsa_float_denorm_mode_16_64 3
		.amdhsa_dx10_clamp 1
		.amdhsa_ieee_mode 1
		.amdhsa_fp16_overflow 0
		.amdhsa_tg_split 0
		.amdhsa_exception_fp_ieee_invalid_op 0
		.amdhsa_exception_fp_denorm_src 0
		.amdhsa_exception_fp_ieee_div_zero 0
		.amdhsa_exception_fp_ieee_overflow 0
		.amdhsa_exception_fp_ieee_underflow 0
		.amdhsa_exception_fp_ieee_inexact 0
		.amdhsa_exception_int_div_zero 0
	.end_amdhsa_kernel
	.section	.text._ZN2ck27kernel_gemm_xdl_cshuffle_v3INS_28GridwiseGemm_xdl_cshuffle_v3INS_13tensor_layout4gemm8RowMajorENS3_11ColumnMajorES4_DF16_NS_9f8_fnuz_tEfDF16_DF16_NS_16tensor_operation12element_wise11PassThroughES9_S9_LNS7_6device18GemmSpecializationE0ELi64ELi32ELi32ELi256ELi8ELi16ELi16ELi16ELi2ELi1ENS_8SequenceIJLi32ELi2ELi1EEEENSC_IJLi1ELi0ELi2EEEESE_Li2ELi8ELi8ELb0ELi0ENSC_IJLi16ELi4ELi1EEEESE_SE_Li2ELi16ELi16ELb0ELi0ELi1ELi1ENSC_IJLi1ELi16ELi1ELi4EEEELi4ELNS_26BlockGemmPipelineSchedulerE1ELNS_24BlockGemmPipelineVersionE0EDF16_DF16_Lb0ELb0ELb0ELi0ELb0EEELb0ELNS_25InMemoryDataOperationEnumE0ELi2ELNS_10TailNumberE10EEEvNT_8ArgumentE,"axG",@progbits,_ZN2ck27kernel_gemm_xdl_cshuffle_v3INS_28GridwiseGemm_xdl_cshuffle_v3INS_13tensor_layout4gemm8RowMajorENS3_11ColumnMajorES4_DF16_NS_9f8_fnuz_tEfDF16_DF16_NS_16tensor_operation12element_wise11PassThroughES9_S9_LNS7_6device18GemmSpecializationE0ELi64ELi32ELi32ELi256ELi8ELi16ELi16ELi16ELi2ELi1ENS_8SequenceIJLi32ELi2ELi1EEEENSC_IJLi1ELi0ELi2EEEESE_Li2ELi8ELi8ELb0ELi0ENSC_IJLi16ELi4ELi1EEEESE_SE_Li2ELi16ELi16ELb0ELi0ELi1ELi1ENSC_IJLi1ELi16ELi1ELi4EEEELi4ELNS_26BlockGemmPipelineSchedulerE1ELNS_24BlockGemmPipelineVersionE0EDF16_DF16_Lb0ELb0ELb0ELi0ELb0EEELb0ELNS_25InMemoryDataOperationEnumE0ELi2ELNS_10TailNumberE10EEEvNT_8ArgumentE,comdat
.Lfunc_end12:
	.size	_ZN2ck27kernel_gemm_xdl_cshuffle_v3INS_28GridwiseGemm_xdl_cshuffle_v3INS_13tensor_layout4gemm8RowMajorENS3_11ColumnMajorES4_DF16_NS_9f8_fnuz_tEfDF16_DF16_NS_16tensor_operation12element_wise11PassThroughES9_S9_LNS7_6device18GemmSpecializationE0ELi64ELi32ELi32ELi256ELi8ELi16ELi16ELi16ELi2ELi1ENS_8SequenceIJLi32ELi2ELi1EEEENSC_IJLi1ELi0ELi2EEEESE_Li2ELi8ELi8ELb0ELi0ENSC_IJLi16ELi4ELi1EEEESE_SE_Li2ELi16ELi16ELb0ELi0ELi1ELi1ENSC_IJLi1ELi16ELi1ELi4EEEELi4ELNS_26BlockGemmPipelineSchedulerE1ELNS_24BlockGemmPipelineVersionE0EDF16_DF16_Lb0ELb0ELb0ELi0ELb0EEELb0ELNS_25InMemoryDataOperationEnumE0ELi2ELNS_10TailNumberE10EEEvNT_8ArgumentE, .Lfunc_end12-_ZN2ck27kernel_gemm_xdl_cshuffle_v3INS_28GridwiseGemm_xdl_cshuffle_v3INS_13tensor_layout4gemm8RowMajorENS3_11ColumnMajorES4_DF16_NS_9f8_fnuz_tEfDF16_DF16_NS_16tensor_operation12element_wise11PassThroughES9_S9_LNS7_6device18GemmSpecializationE0ELi64ELi32ELi32ELi256ELi8ELi16ELi16ELi16ELi2ELi1ENS_8SequenceIJLi32ELi2ELi1EEEENSC_IJLi1ELi0ELi2EEEESE_Li2ELi8ELi8ELb0ELi0ENSC_IJLi16ELi4ELi1EEEESE_SE_Li2ELi16ELi16ELb0ELi0ELi1ELi1ENSC_IJLi1ELi16ELi1ELi4EEEELi4ELNS_26BlockGemmPipelineSchedulerE1ELNS_24BlockGemmPipelineVersionE0EDF16_DF16_Lb0ELb0ELb0ELi0ELb0EEELb0ELNS_25InMemoryDataOperationEnumE0ELi2ELNS_10TailNumberE10EEEvNT_8ArgumentE
                                        ; -- End function
	.section	.AMDGPU.csdata,"",@progbits
; Kernel info:
; codeLenInByte = 4
; NumSgprs: 4
; NumVgprs: 0
; NumAgprs: 0
; TotalNumVgprs: 0
; ScratchSize: 0
; MemoryBound: 0
; FloatMode: 240
; IeeeMode: 1
; LDSByteSize: 0 bytes/workgroup (compile time only)
; SGPRBlocks: 0
; VGPRBlocks: 0
; NumSGPRsForWavesPerEU: 4
; NumVGPRsForWavesPerEU: 1
; AccumOffset: 4
; Occupancy: 8
; WaveLimiterHint : 0
; COMPUTE_PGM_RSRC2:SCRATCH_EN: 0
; COMPUTE_PGM_RSRC2:USER_SGPR: 6
; COMPUTE_PGM_RSRC2:TRAP_HANDLER: 0
; COMPUTE_PGM_RSRC2:TGID_X_EN: 1
; COMPUTE_PGM_RSRC2:TGID_Y_EN: 0
; COMPUTE_PGM_RSRC2:TGID_Z_EN: 0
; COMPUTE_PGM_RSRC2:TIDIG_COMP_CNT: 0
; COMPUTE_PGM_RSRC3_GFX90A:ACCUM_OFFSET: 0
; COMPUTE_PGM_RSRC3_GFX90A:TG_SPLIT: 0
	.text
	.p2alignl 6, 3212836864
	.fill 256, 4, 3212836864
	.type	__const._ZN2ck28GridwiseGemm_xdl_cshuffle_v3INS_13tensor_layout4gemm8RowMajorENS2_11ColumnMajorES3_DF16_NS_9f8_fnuz_tEfDF16_DF16_NS_16tensor_operation12element_wise11PassThroughES8_S8_LNS6_6device18GemmSpecializationE0ELi64ELi32ELi32ELi256ELi8ELi16ELi16ELi16ELi2ELi2ENS_8SequenceIJLi32ELi2ELi1EEEENSB_IJLi1ELi0ELi2EEEESD_Li2ELi8ELi8ELb0ELi0ENSB_IJLi16ELi4ELi1EEEESD_SD_Li2ELi16ELi16ELb0ELi0ELi1ELi1ENSB_IJLi1ELi16ELi1ELi4EEEELi4ELNS_26BlockGemmPipelineSchedulerE1ELNS_24BlockGemmPipelineVersionE0EDF16_DF16_Lb0ELb0ELb0ELi0ELb0EE3RunIKNS_16TensorDescriptorINS_5TupleIJNS_5EmbedINSL_IJiiEEENSL_IJiNS_17integral_constantIiLi1EEEEEELb0EEENS_7UnMergeISN_Lb0EEENS_11PassThroughIiEEEEENSL_IJNSB_IJLi0EEEENSB_IJLi2EEEENSB_IJLi1EEEEEEENSL_IJNSB_IJLi1ELi2EEEENSB_IJLi3ELi4EEEENSB_IJLi5EEEEEEENSB_IJLi3ELi5ELi4EEEElEES17_KNSK_INSL_IJSR_NS_8RightPadIiiLb0EEES19_NSS_INSL_IJiNSO_IiLi32EEEEEELb0EEES1C_EEENSL_IJSX_SZ_SY_NSB_IJLi3EEEENSB_IJLi4EEEEEEENSL_IJS11_S1E_S1F_NSB_IJLi5ELi6EEEENSB_IJLi7ELi8EEEEEEENSB_IJLi5ELi6ELi7ELi8EEEElEELb1ELNS_25InMemoryDataOperationEnumE1ELNS_10TailNumberE10EEEvPKDF16_PKS5_PDF16_PvRKNSI_7ProblemERKT_RKT0_RKT1_.a_block_slice_copy_step,@object ; @__const._ZN2ck28GridwiseGemm_xdl_cshuffle_v3INS_13tensor_layout4gemm8RowMajorENS2_11ColumnMajorES3_DF16_NS_9f8_fnuz_tEfDF16_DF16_NS_16tensor_operation12element_wise11PassThroughES8_S8_LNS6_6device18GemmSpecializationE0ELi64ELi32ELi32ELi256ELi8ELi16ELi16ELi16ELi2ELi2ENS_8SequenceIJLi32ELi2ELi1EEEENSB_IJLi1ELi0ELi2EEEESD_Li2ELi8ELi8ELb0ELi0ENSB_IJLi16ELi4ELi1EEEESD_SD_Li2ELi16ELi16ELb0ELi0ELi1ELi1ENSB_IJLi1ELi16ELi1ELi4EEEELi4ELNS_26BlockGemmPipelineSchedulerE1ELNS_24BlockGemmPipelineVersionE0EDF16_DF16_Lb0ELb0ELb0ELi0ELb0EE3RunIKNS_16TensorDescriptorINS_5TupleIJNS_5EmbedINSL_IJiiEEENSL_IJiNS_17integral_constantIiLi1EEEEEELb0EEENS_7UnMergeISN_Lb0EEENS_11PassThroughIiEEEEENSL_IJNSB_IJLi0EEEENSB_IJLi2EEEENSB_IJLi1EEEEEEENSL_IJNSB_IJLi1ELi2EEEENSB_IJLi3ELi4EEEENSB_IJLi5EEEEEEENSB_IJLi3ELi5ELi4EEEElEES17_KNSK_INSL_IJSR_NS_8RightPadIiiLb0EEES19_NSS_INSL_IJiNSO_IiLi32EEEEEELb0EEES1C_EEENSL_IJSX_SZ_SY_NSB_IJLi3EEEENSB_IJLi4EEEEEEENSL_IJS11_S1E_S1F_NSB_IJLi5ELi6EEEENSB_IJLi7ELi8EEEEEEENSB_IJLi5ELi6ELi7ELi8EEEElEELb1ELNS_25InMemoryDataOperationEnumE1ELNS_10TailNumberE10EEEvPKDF16_PKS5_PDF16_PvRKNSI_7ProblemERKT_RKT0_RKT1_.a_block_slice_copy_step
	.section	.rodata,"a",@progbits
	.p2align	2, 0x0
__const._ZN2ck28GridwiseGemm_xdl_cshuffle_v3INS_13tensor_layout4gemm8RowMajorENS2_11ColumnMajorES3_DF16_NS_9f8_fnuz_tEfDF16_DF16_NS_16tensor_operation12element_wise11PassThroughES8_S8_LNS6_6device18GemmSpecializationE0ELi64ELi32ELi32ELi256ELi8ELi16ELi16ELi16ELi2ELi2ENS_8SequenceIJLi32ELi2ELi1EEEENSB_IJLi1ELi0ELi2EEEESD_Li2ELi8ELi8ELb0ELi0ENSB_IJLi16ELi4ELi1EEEESD_SD_Li2ELi16ELi16ELb0ELi0ELi1ELi1ENSB_IJLi1ELi16ELi1ELi4EEEELi4ELNS_26BlockGemmPipelineSchedulerE1ELNS_24BlockGemmPipelineVersionE0EDF16_DF16_Lb0ELb0ELb0ELi0ELb0EE3RunIKNS_16TensorDescriptorINS_5TupleIJNS_5EmbedINSL_IJiiEEENSL_IJiNS_17integral_constantIiLi1EEEEEELb0EEENS_7UnMergeISN_Lb0EEENS_11PassThroughIiEEEEENSL_IJNSB_IJLi0EEEENSB_IJLi2EEEENSB_IJLi1EEEEEEENSL_IJNSB_IJLi1ELi2EEEENSB_IJLi3ELi4EEEENSB_IJLi5EEEEEEENSB_IJLi3ELi5ELi4EEEElEES17_KNSK_INSL_IJSR_NS_8RightPadIiiLb0EEES19_NSS_INSL_IJiNSO_IiLi32EEEEEELb0EEES1C_EEENSL_IJSX_SZ_SY_NSB_IJLi3EEEENSB_IJLi4EEEEEEENSL_IJS11_S1E_S1F_NSB_IJLi5ELi6EEEENSB_IJLi7ELi8EEEEEEENSB_IJLi5ELi6ELi7ELi8EEEElEELb1ELNS_25InMemoryDataOperationEnumE1ELNS_10TailNumberE10EEEvPKDF16_PKS5_PDF16_PvRKNSI_7ProblemERKT_RKT0_RKT1_.a_block_slice_copy_step:
	.long	32                              ; 0x20
	.long	0                               ; 0x0
	.long	0                               ; 0x0
	.size	__const._ZN2ck28GridwiseGemm_xdl_cshuffle_v3INS_13tensor_layout4gemm8RowMajorENS2_11ColumnMajorES3_DF16_NS_9f8_fnuz_tEfDF16_DF16_NS_16tensor_operation12element_wise11PassThroughES8_S8_LNS6_6device18GemmSpecializationE0ELi64ELi32ELi32ELi256ELi8ELi16ELi16ELi16ELi2ELi2ENS_8SequenceIJLi32ELi2ELi1EEEENSB_IJLi1ELi0ELi2EEEESD_Li2ELi8ELi8ELb0ELi0ENSB_IJLi16ELi4ELi1EEEESD_SD_Li2ELi16ELi16ELb0ELi0ELi1ELi1ENSB_IJLi1ELi16ELi1ELi4EEEELi4ELNS_26BlockGemmPipelineSchedulerE1ELNS_24BlockGemmPipelineVersionE0EDF16_DF16_Lb0ELb0ELb0ELi0ELb0EE3RunIKNS_16TensorDescriptorINS_5TupleIJNS_5EmbedINSL_IJiiEEENSL_IJiNS_17integral_constantIiLi1EEEEEELb0EEENS_7UnMergeISN_Lb0EEENS_11PassThroughIiEEEEENSL_IJNSB_IJLi0EEEENSB_IJLi2EEEENSB_IJLi1EEEEEEENSL_IJNSB_IJLi1ELi2EEEENSB_IJLi3ELi4EEEENSB_IJLi5EEEEEEENSB_IJLi3ELi5ELi4EEEElEES17_KNSK_INSL_IJSR_NS_8RightPadIiiLb0EEES19_NSS_INSL_IJiNSO_IiLi32EEEEEELb0EEES1C_EEENSL_IJSX_SZ_SY_NSB_IJLi3EEEENSB_IJLi4EEEEEEENSL_IJS11_S1E_S1F_NSB_IJLi5ELi6EEEENSB_IJLi7ELi8EEEEEEENSB_IJLi5ELi6ELi7ELi8EEEElEELb1ELNS_25InMemoryDataOperationEnumE1ELNS_10TailNumberE10EEEvPKDF16_PKS5_PDF16_PvRKNSI_7ProblemERKT_RKT0_RKT1_.a_block_slice_copy_step, 12

	.type	__const._ZN2ck28GridwiseGemm_xdl_cshuffle_v3INS_13tensor_layout4gemm8RowMajorENS2_11ColumnMajorES3_DF16_NS_9f8_fnuz_tEfDF16_DF16_NS_16tensor_operation12element_wise11PassThroughES8_S8_LNS6_6device18GemmSpecializationE0ELi64ELi32ELi32ELi256ELi8ELi16ELi16ELi16ELi2ELi2ENS_8SequenceIJLi32ELi2ELi1EEEENSB_IJLi1ELi0ELi2EEEESD_Li2ELi8ELi8ELb0ELi0ENSB_IJLi16ELi4ELi1EEEESD_SD_Li2ELi16ELi16ELb0ELi0ELi1ELi1ENSB_IJLi1ELi16ELi1ELi4EEEELi4ELNS_26BlockGemmPipelineSchedulerE1ELNS_24BlockGemmPipelineVersionE0EDF16_DF16_Lb0ELb0ELb0ELi0ELb0EE3RunIKNS_16TensorDescriptorINS_5TupleIJNS_5EmbedINSL_IJiiEEENSL_IJiNS_17integral_constantIiLi1EEEEEELb0EEENS_7UnMergeISN_Lb0EEENS_11PassThroughIiEEEEENSL_IJNSB_IJLi0EEEENSB_IJLi2EEEENSB_IJLi1EEEEEEENSL_IJNSB_IJLi1ELi2EEEENSB_IJLi3ELi4EEEENSB_IJLi5EEEEEEENSB_IJLi3ELi5ELi4EEEElEES17_KNSK_INSL_IJSR_NS_8RightPadIiiLb0EEES19_NSS_INSL_IJiNSO_IiLi32EEEEEELb0EEES1C_EEENSL_IJSX_SZ_SY_NSB_IJLi3EEEENSB_IJLi4EEEEEEENSL_IJS11_S1E_S1F_NSB_IJLi5ELi6EEEENSB_IJLi7ELi8EEEEEEENSB_IJLi5ELi6ELi7ELi8EEEElEELb1ELNS_25InMemoryDataOperationEnumE1ELNS_10TailNumberE10EEEvPKDF16_PKS5_PDF16_PvRKNSI_7ProblemERKT_RKT0_RKT1_.b_block_slice_copy_step,@object ; @__const._ZN2ck28GridwiseGemm_xdl_cshuffle_v3INS_13tensor_layout4gemm8RowMajorENS2_11ColumnMajorES3_DF16_NS_9f8_fnuz_tEfDF16_DF16_NS_16tensor_operation12element_wise11PassThroughES8_S8_LNS6_6device18GemmSpecializationE0ELi64ELi32ELi32ELi256ELi8ELi16ELi16ELi16ELi2ELi2ENS_8SequenceIJLi32ELi2ELi1EEEENSB_IJLi1ELi0ELi2EEEESD_Li2ELi8ELi8ELb0ELi0ENSB_IJLi16ELi4ELi1EEEESD_SD_Li2ELi16ELi16ELb0ELi0ELi1ELi1ENSB_IJLi1ELi16ELi1ELi4EEEELi4ELNS_26BlockGemmPipelineSchedulerE1ELNS_24BlockGemmPipelineVersionE0EDF16_DF16_Lb0ELb0ELb0ELi0ELb0EE3RunIKNS_16TensorDescriptorINS_5TupleIJNS_5EmbedINSL_IJiiEEENSL_IJiNS_17integral_constantIiLi1EEEEEELb0EEENS_7UnMergeISN_Lb0EEENS_11PassThroughIiEEEEENSL_IJNSB_IJLi0EEEENSB_IJLi2EEEENSB_IJLi1EEEEEEENSL_IJNSB_IJLi1ELi2EEEENSB_IJLi3ELi4EEEENSB_IJLi5EEEEEEENSB_IJLi3ELi5ELi4EEEElEES17_KNSK_INSL_IJSR_NS_8RightPadIiiLb0EEES19_NSS_INSL_IJiNSO_IiLi32EEEEEELb0EEES1C_EEENSL_IJSX_SZ_SY_NSB_IJLi3EEEENSB_IJLi4EEEEEEENSL_IJS11_S1E_S1F_NSB_IJLi5ELi6EEEENSB_IJLi7ELi8EEEEEEENSB_IJLi5ELi6ELi7ELi8EEEElEELb1ELNS_25InMemoryDataOperationEnumE1ELNS_10TailNumberE10EEEvPKDF16_PKS5_PDF16_PvRKNSI_7ProblemERKT_RKT0_RKT1_.b_block_slice_copy_step
	.p2align	2, 0x0
__const._ZN2ck28GridwiseGemm_xdl_cshuffle_v3INS_13tensor_layout4gemm8RowMajorENS2_11ColumnMajorES3_DF16_NS_9f8_fnuz_tEfDF16_DF16_NS_16tensor_operation12element_wise11PassThroughES8_S8_LNS6_6device18GemmSpecializationE0ELi64ELi32ELi32ELi256ELi8ELi16ELi16ELi16ELi2ELi2ENS_8SequenceIJLi32ELi2ELi1EEEENSB_IJLi1ELi0ELi2EEEESD_Li2ELi8ELi8ELb0ELi0ENSB_IJLi16ELi4ELi1EEEESD_SD_Li2ELi16ELi16ELb0ELi0ELi1ELi1ENSB_IJLi1ELi16ELi1ELi4EEEELi4ELNS_26BlockGemmPipelineSchedulerE1ELNS_24BlockGemmPipelineVersionE0EDF16_DF16_Lb0ELb0ELb0ELi0ELb0EE3RunIKNS_16TensorDescriptorINS_5TupleIJNS_5EmbedINSL_IJiiEEENSL_IJiNS_17integral_constantIiLi1EEEEEELb0EEENS_7UnMergeISN_Lb0EEENS_11PassThroughIiEEEEENSL_IJNSB_IJLi0EEEENSB_IJLi2EEEENSB_IJLi1EEEEEEENSL_IJNSB_IJLi1ELi2EEEENSB_IJLi3ELi4EEEENSB_IJLi5EEEEEEENSB_IJLi3ELi5ELi4EEEElEES17_KNSK_INSL_IJSR_NS_8RightPadIiiLb0EEES19_NSS_INSL_IJiNSO_IiLi32EEEEEELb0EEES1C_EEENSL_IJSX_SZ_SY_NSB_IJLi3EEEENSB_IJLi4EEEEEEENSL_IJS11_S1E_S1F_NSB_IJLi5ELi6EEEENSB_IJLi7ELi8EEEEEEENSB_IJLi5ELi6ELi7ELi8EEEElEELb1ELNS_25InMemoryDataOperationEnumE1ELNS_10TailNumberE10EEEvPKDF16_PKS5_PDF16_PvRKNSI_7ProblemERKT_RKT0_RKT1_.b_block_slice_copy_step:
	.long	16                              ; 0x10
	.long	0                               ; 0x0
	.long	0                               ; 0x0
	.size	__const._ZN2ck28GridwiseGemm_xdl_cshuffle_v3INS_13tensor_layout4gemm8RowMajorENS2_11ColumnMajorES3_DF16_NS_9f8_fnuz_tEfDF16_DF16_NS_16tensor_operation12element_wise11PassThroughES8_S8_LNS6_6device18GemmSpecializationE0ELi64ELi32ELi32ELi256ELi8ELi16ELi16ELi16ELi2ELi2ENS_8SequenceIJLi32ELi2ELi1EEEENSB_IJLi1ELi0ELi2EEEESD_Li2ELi8ELi8ELb0ELi0ENSB_IJLi16ELi4ELi1EEEESD_SD_Li2ELi16ELi16ELb0ELi0ELi1ELi1ENSB_IJLi1ELi16ELi1ELi4EEEELi4ELNS_26BlockGemmPipelineSchedulerE1ELNS_24BlockGemmPipelineVersionE0EDF16_DF16_Lb0ELb0ELb0ELi0ELb0EE3RunIKNS_16TensorDescriptorINS_5TupleIJNS_5EmbedINSL_IJiiEEENSL_IJiNS_17integral_constantIiLi1EEEEEELb0EEENS_7UnMergeISN_Lb0EEENS_11PassThroughIiEEEEENSL_IJNSB_IJLi0EEEENSB_IJLi2EEEENSB_IJLi1EEEEEEENSL_IJNSB_IJLi1ELi2EEEENSB_IJLi3ELi4EEEENSB_IJLi5EEEEEEENSB_IJLi3ELi5ELi4EEEElEES17_KNSK_INSL_IJSR_NS_8RightPadIiiLb0EEES19_NSS_INSL_IJiNSO_IiLi32EEEEEELb0EEES1C_EEENSL_IJSX_SZ_SY_NSB_IJLi3EEEENSB_IJLi4EEEEEEENSL_IJS11_S1E_S1F_NSB_IJLi5ELi6EEEENSB_IJLi7ELi8EEEEEEENSB_IJLi5ELi6ELi7ELi8EEEElEELb1ELNS_25InMemoryDataOperationEnumE1ELNS_10TailNumberE10EEEvPKDF16_PKS5_PDF16_PvRKNSI_7ProblemERKT_RKT0_RKT1_.b_block_slice_copy_step, 12

	.type	__const._ZN2ck28GridwiseGemm_xdl_cshuffle_v3INS_13tensor_layout4gemm8RowMajorENS2_11ColumnMajorES3_DF16_NS_9f8_fnuz_tEfDF16_DF16_NS_16tensor_operation12element_wise11PassThroughES8_S8_LNS6_6device18GemmSpecializationE0ELi64ELi32ELi32ELi256ELi8ELi16ELi16ELi16ELi2ELi2ENS_8SequenceIJLi32ELi2ELi1EEEENSB_IJLi1ELi0ELi2EEEESD_Li2ELi8ELi8ELb0ELi0ENSB_IJLi16ELi4ELi1EEEESD_SD_Li2ELi16ELi16ELb0ELi0ELi1ELi1ENSB_IJLi1ELi16ELi1ELi4EEEELi4ELNS_26BlockGemmPipelineSchedulerE1ELNS_24BlockGemmPipelineVersionE0EDF16_DF16_Lb0ELb0ELb0ELi0ELb0EE3RunIKNS_16TensorDescriptorINS_5TupleIJNS_5EmbedINSL_IJiiEEENSL_IJiNS_17integral_constantIiLi1EEEEEELb0EEENS_7UnMergeISN_Lb0EEENS_11PassThroughIiEEEEENSL_IJNSB_IJLi0EEEENSB_IJLi2EEEENSB_IJLi1EEEEEEENSL_IJNSB_IJLi1ELi2EEEENSB_IJLi3ELi4EEEENSB_IJLi5EEEEEEENSB_IJLi3ELi5ELi4EEEElEES17_KNSK_INSL_IJSR_NS_8RightPadIiiLb0EEES19_NSS_INSL_IJiNSO_IiLi32EEEEEELb0EEES1C_EEENSL_IJSX_SZ_SY_NSB_IJLi3EEEENSB_IJLi4EEEEEEENSL_IJS11_S1E_S1F_NSB_IJLi5ELi6EEEENSB_IJLi7ELi8EEEEEEENSB_IJLi5ELi6ELi7ELi8EEEElEELb1ELNS_25InMemoryDataOperationEnumE0ELNS_10TailNumberE10EEEvPKDF16_PKS5_PDF16_PvRKNSI_7ProblemERKT_RKT0_RKT1_.a_block_slice_copy_step,@object ; @__const._ZN2ck28GridwiseGemm_xdl_cshuffle_v3INS_13tensor_layout4gemm8RowMajorENS2_11ColumnMajorES3_DF16_NS_9f8_fnuz_tEfDF16_DF16_NS_16tensor_operation12element_wise11PassThroughES8_S8_LNS6_6device18GemmSpecializationE0ELi64ELi32ELi32ELi256ELi8ELi16ELi16ELi16ELi2ELi2ENS_8SequenceIJLi32ELi2ELi1EEEENSB_IJLi1ELi0ELi2EEEESD_Li2ELi8ELi8ELb0ELi0ENSB_IJLi16ELi4ELi1EEEESD_SD_Li2ELi16ELi16ELb0ELi0ELi1ELi1ENSB_IJLi1ELi16ELi1ELi4EEEELi4ELNS_26BlockGemmPipelineSchedulerE1ELNS_24BlockGemmPipelineVersionE0EDF16_DF16_Lb0ELb0ELb0ELi0ELb0EE3RunIKNS_16TensorDescriptorINS_5TupleIJNS_5EmbedINSL_IJiiEEENSL_IJiNS_17integral_constantIiLi1EEEEEELb0EEENS_7UnMergeISN_Lb0EEENS_11PassThroughIiEEEEENSL_IJNSB_IJLi0EEEENSB_IJLi2EEEENSB_IJLi1EEEEEEENSL_IJNSB_IJLi1ELi2EEEENSB_IJLi3ELi4EEEENSB_IJLi5EEEEEEENSB_IJLi3ELi5ELi4EEEElEES17_KNSK_INSL_IJSR_NS_8RightPadIiiLb0EEES19_NSS_INSL_IJiNSO_IiLi32EEEEEELb0EEES1C_EEENSL_IJSX_SZ_SY_NSB_IJLi3EEEENSB_IJLi4EEEEEEENSL_IJS11_S1E_S1F_NSB_IJLi5ELi6EEEENSB_IJLi7ELi8EEEEEEENSB_IJLi5ELi6ELi7ELi8EEEElEELb1ELNS_25InMemoryDataOperationEnumE0ELNS_10TailNumberE10EEEvPKDF16_PKS5_PDF16_PvRKNSI_7ProblemERKT_RKT0_RKT1_.a_block_slice_copy_step
	.p2align	2, 0x0
__const._ZN2ck28GridwiseGemm_xdl_cshuffle_v3INS_13tensor_layout4gemm8RowMajorENS2_11ColumnMajorES3_DF16_NS_9f8_fnuz_tEfDF16_DF16_NS_16tensor_operation12element_wise11PassThroughES8_S8_LNS6_6device18GemmSpecializationE0ELi64ELi32ELi32ELi256ELi8ELi16ELi16ELi16ELi2ELi2ENS_8SequenceIJLi32ELi2ELi1EEEENSB_IJLi1ELi0ELi2EEEESD_Li2ELi8ELi8ELb0ELi0ENSB_IJLi16ELi4ELi1EEEESD_SD_Li2ELi16ELi16ELb0ELi0ELi1ELi1ENSB_IJLi1ELi16ELi1ELi4EEEELi4ELNS_26BlockGemmPipelineSchedulerE1ELNS_24BlockGemmPipelineVersionE0EDF16_DF16_Lb0ELb0ELb0ELi0ELb0EE3RunIKNS_16TensorDescriptorINS_5TupleIJNS_5EmbedINSL_IJiiEEENSL_IJiNS_17integral_constantIiLi1EEEEEELb0EEENS_7UnMergeISN_Lb0EEENS_11PassThroughIiEEEEENSL_IJNSB_IJLi0EEEENSB_IJLi2EEEENSB_IJLi1EEEEEEENSL_IJNSB_IJLi1ELi2EEEENSB_IJLi3ELi4EEEENSB_IJLi5EEEEEEENSB_IJLi3ELi5ELi4EEEElEES17_KNSK_INSL_IJSR_NS_8RightPadIiiLb0EEES19_NSS_INSL_IJiNSO_IiLi32EEEEEELb0EEES1C_EEENSL_IJSX_SZ_SY_NSB_IJLi3EEEENSB_IJLi4EEEEEEENSL_IJS11_S1E_S1F_NSB_IJLi5ELi6EEEENSB_IJLi7ELi8EEEEEEENSB_IJLi5ELi6ELi7ELi8EEEElEELb1ELNS_25InMemoryDataOperationEnumE0ELNS_10TailNumberE10EEEvPKDF16_PKS5_PDF16_PvRKNSI_7ProblemERKT_RKT0_RKT1_.a_block_slice_copy_step:
	.long	32                              ; 0x20
	.long	0                               ; 0x0
	.long	0                               ; 0x0
	.size	__const._ZN2ck28GridwiseGemm_xdl_cshuffle_v3INS_13tensor_layout4gemm8RowMajorENS2_11ColumnMajorES3_DF16_NS_9f8_fnuz_tEfDF16_DF16_NS_16tensor_operation12element_wise11PassThroughES8_S8_LNS6_6device18GemmSpecializationE0ELi64ELi32ELi32ELi256ELi8ELi16ELi16ELi16ELi2ELi2ENS_8SequenceIJLi32ELi2ELi1EEEENSB_IJLi1ELi0ELi2EEEESD_Li2ELi8ELi8ELb0ELi0ENSB_IJLi16ELi4ELi1EEEESD_SD_Li2ELi16ELi16ELb0ELi0ELi1ELi1ENSB_IJLi1ELi16ELi1ELi4EEEELi4ELNS_26BlockGemmPipelineSchedulerE1ELNS_24BlockGemmPipelineVersionE0EDF16_DF16_Lb0ELb0ELb0ELi0ELb0EE3RunIKNS_16TensorDescriptorINS_5TupleIJNS_5EmbedINSL_IJiiEEENSL_IJiNS_17integral_constantIiLi1EEEEEELb0EEENS_7UnMergeISN_Lb0EEENS_11PassThroughIiEEEEENSL_IJNSB_IJLi0EEEENSB_IJLi2EEEENSB_IJLi1EEEEEEENSL_IJNSB_IJLi1ELi2EEEENSB_IJLi3ELi4EEEENSB_IJLi5EEEEEEENSB_IJLi3ELi5ELi4EEEElEES17_KNSK_INSL_IJSR_NS_8RightPadIiiLb0EEES19_NSS_INSL_IJiNSO_IiLi32EEEEEELb0EEES1C_EEENSL_IJSX_SZ_SY_NSB_IJLi3EEEENSB_IJLi4EEEEEEENSL_IJS11_S1E_S1F_NSB_IJLi5ELi6EEEENSB_IJLi7ELi8EEEEEEENSB_IJLi5ELi6ELi7ELi8EEEElEELb1ELNS_25InMemoryDataOperationEnumE0ELNS_10TailNumberE10EEEvPKDF16_PKS5_PDF16_PvRKNSI_7ProblemERKT_RKT0_RKT1_.a_block_slice_copy_step, 12

	.type	__const._ZN2ck28GridwiseGemm_xdl_cshuffle_v3INS_13tensor_layout4gemm8RowMajorENS2_11ColumnMajorES3_DF16_NS_9f8_fnuz_tEfDF16_DF16_NS_16tensor_operation12element_wise11PassThroughES8_S8_LNS6_6device18GemmSpecializationE0ELi64ELi32ELi32ELi256ELi8ELi16ELi16ELi16ELi2ELi2ENS_8SequenceIJLi32ELi2ELi1EEEENSB_IJLi1ELi0ELi2EEEESD_Li2ELi8ELi8ELb0ELi0ENSB_IJLi16ELi4ELi1EEEESD_SD_Li2ELi16ELi16ELb0ELi0ELi1ELi1ENSB_IJLi1ELi16ELi1ELi4EEEELi4ELNS_26BlockGemmPipelineSchedulerE1ELNS_24BlockGemmPipelineVersionE0EDF16_DF16_Lb0ELb0ELb0ELi0ELb0EE3RunIKNS_16TensorDescriptorINS_5TupleIJNS_5EmbedINSL_IJiiEEENSL_IJiNS_17integral_constantIiLi1EEEEEELb0EEENS_7UnMergeISN_Lb0EEENS_11PassThroughIiEEEEENSL_IJNSB_IJLi0EEEENSB_IJLi2EEEENSB_IJLi1EEEEEEENSL_IJNSB_IJLi1ELi2EEEENSB_IJLi3ELi4EEEENSB_IJLi5EEEEEEENSB_IJLi3ELi5ELi4EEEElEES17_KNSK_INSL_IJSR_NS_8RightPadIiiLb0EEES19_NSS_INSL_IJiNSO_IiLi32EEEEEELb0EEES1C_EEENSL_IJSX_SZ_SY_NSB_IJLi3EEEENSB_IJLi4EEEEEEENSL_IJS11_S1E_S1F_NSB_IJLi5ELi6EEEENSB_IJLi7ELi8EEEEEEENSB_IJLi5ELi6ELi7ELi8EEEElEELb1ELNS_25InMemoryDataOperationEnumE0ELNS_10TailNumberE10EEEvPKDF16_PKS5_PDF16_PvRKNSI_7ProblemERKT_RKT0_RKT1_.b_block_slice_copy_step,@object ; @__const._ZN2ck28GridwiseGemm_xdl_cshuffle_v3INS_13tensor_layout4gemm8RowMajorENS2_11ColumnMajorES3_DF16_NS_9f8_fnuz_tEfDF16_DF16_NS_16tensor_operation12element_wise11PassThroughES8_S8_LNS6_6device18GemmSpecializationE0ELi64ELi32ELi32ELi256ELi8ELi16ELi16ELi16ELi2ELi2ENS_8SequenceIJLi32ELi2ELi1EEEENSB_IJLi1ELi0ELi2EEEESD_Li2ELi8ELi8ELb0ELi0ENSB_IJLi16ELi4ELi1EEEESD_SD_Li2ELi16ELi16ELb0ELi0ELi1ELi1ENSB_IJLi1ELi16ELi1ELi4EEEELi4ELNS_26BlockGemmPipelineSchedulerE1ELNS_24BlockGemmPipelineVersionE0EDF16_DF16_Lb0ELb0ELb0ELi0ELb0EE3RunIKNS_16TensorDescriptorINS_5TupleIJNS_5EmbedINSL_IJiiEEENSL_IJiNS_17integral_constantIiLi1EEEEEELb0EEENS_7UnMergeISN_Lb0EEENS_11PassThroughIiEEEEENSL_IJNSB_IJLi0EEEENSB_IJLi2EEEENSB_IJLi1EEEEEEENSL_IJNSB_IJLi1ELi2EEEENSB_IJLi3ELi4EEEENSB_IJLi5EEEEEEENSB_IJLi3ELi5ELi4EEEElEES17_KNSK_INSL_IJSR_NS_8RightPadIiiLb0EEES19_NSS_INSL_IJiNSO_IiLi32EEEEEELb0EEES1C_EEENSL_IJSX_SZ_SY_NSB_IJLi3EEEENSB_IJLi4EEEEEEENSL_IJS11_S1E_S1F_NSB_IJLi5ELi6EEEENSB_IJLi7ELi8EEEEEEENSB_IJLi5ELi6ELi7ELi8EEEElEELb1ELNS_25InMemoryDataOperationEnumE0ELNS_10TailNumberE10EEEvPKDF16_PKS5_PDF16_PvRKNSI_7ProblemERKT_RKT0_RKT1_.b_block_slice_copy_step
	.p2align	2, 0x0
__const._ZN2ck28GridwiseGemm_xdl_cshuffle_v3INS_13tensor_layout4gemm8RowMajorENS2_11ColumnMajorES3_DF16_NS_9f8_fnuz_tEfDF16_DF16_NS_16tensor_operation12element_wise11PassThroughES8_S8_LNS6_6device18GemmSpecializationE0ELi64ELi32ELi32ELi256ELi8ELi16ELi16ELi16ELi2ELi2ENS_8SequenceIJLi32ELi2ELi1EEEENSB_IJLi1ELi0ELi2EEEESD_Li2ELi8ELi8ELb0ELi0ENSB_IJLi16ELi4ELi1EEEESD_SD_Li2ELi16ELi16ELb0ELi0ELi1ELi1ENSB_IJLi1ELi16ELi1ELi4EEEELi4ELNS_26BlockGemmPipelineSchedulerE1ELNS_24BlockGemmPipelineVersionE0EDF16_DF16_Lb0ELb0ELb0ELi0ELb0EE3RunIKNS_16TensorDescriptorINS_5TupleIJNS_5EmbedINSL_IJiiEEENSL_IJiNS_17integral_constantIiLi1EEEEEELb0EEENS_7UnMergeISN_Lb0EEENS_11PassThroughIiEEEEENSL_IJNSB_IJLi0EEEENSB_IJLi2EEEENSB_IJLi1EEEEEEENSL_IJNSB_IJLi1ELi2EEEENSB_IJLi3ELi4EEEENSB_IJLi5EEEEEEENSB_IJLi3ELi5ELi4EEEElEES17_KNSK_INSL_IJSR_NS_8RightPadIiiLb0EEES19_NSS_INSL_IJiNSO_IiLi32EEEEEELb0EEES1C_EEENSL_IJSX_SZ_SY_NSB_IJLi3EEEENSB_IJLi4EEEEEEENSL_IJS11_S1E_S1F_NSB_IJLi5ELi6EEEENSB_IJLi7ELi8EEEEEEENSB_IJLi5ELi6ELi7ELi8EEEElEELb1ELNS_25InMemoryDataOperationEnumE0ELNS_10TailNumberE10EEEvPKDF16_PKS5_PDF16_PvRKNSI_7ProblemERKT_RKT0_RKT1_.b_block_slice_copy_step:
	.long	16                              ; 0x10
	.long	0                               ; 0x0
	.long	0                               ; 0x0
	.size	__const._ZN2ck28GridwiseGemm_xdl_cshuffle_v3INS_13tensor_layout4gemm8RowMajorENS2_11ColumnMajorES3_DF16_NS_9f8_fnuz_tEfDF16_DF16_NS_16tensor_operation12element_wise11PassThroughES8_S8_LNS6_6device18GemmSpecializationE0ELi64ELi32ELi32ELi256ELi8ELi16ELi16ELi16ELi2ELi2ENS_8SequenceIJLi32ELi2ELi1EEEENSB_IJLi1ELi0ELi2EEEESD_Li2ELi8ELi8ELb0ELi0ENSB_IJLi16ELi4ELi1EEEESD_SD_Li2ELi16ELi16ELb0ELi0ELi1ELi1ENSB_IJLi1ELi16ELi1ELi4EEEELi4ELNS_26BlockGemmPipelineSchedulerE1ELNS_24BlockGemmPipelineVersionE0EDF16_DF16_Lb0ELb0ELb0ELi0ELb0EE3RunIKNS_16TensorDescriptorINS_5TupleIJNS_5EmbedINSL_IJiiEEENSL_IJiNS_17integral_constantIiLi1EEEEEELb0EEENS_7UnMergeISN_Lb0EEENS_11PassThroughIiEEEEENSL_IJNSB_IJLi0EEEENSB_IJLi2EEEENSB_IJLi1EEEEEEENSL_IJNSB_IJLi1ELi2EEEENSB_IJLi3ELi4EEEENSB_IJLi5EEEEEEENSB_IJLi3ELi5ELi4EEEElEES17_KNSK_INSL_IJSR_NS_8RightPadIiiLb0EEES19_NSS_INSL_IJiNSO_IiLi32EEEEEELb0EEES1C_EEENSL_IJSX_SZ_SY_NSB_IJLi3EEEENSB_IJLi4EEEEEEENSL_IJS11_S1E_S1F_NSB_IJLi5ELi6EEEENSB_IJLi7ELi8EEEEEEENSB_IJLi5ELi6ELi7ELi8EEEElEELb1ELNS_25InMemoryDataOperationEnumE0ELNS_10TailNumberE10EEEvPKDF16_PKS5_PDF16_PvRKNSI_7ProblemERKT_RKT0_RKT1_.b_block_slice_copy_step, 12

	.type	__hip_cuid_bc12da9796ff365f,@object ; @__hip_cuid_bc12da9796ff365f
	.section	.bss,"aw",@nobits
	.globl	__hip_cuid_bc12da9796ff365f
__hip_cuid_bc12da9796ff365f:
	.byte	0                               ; 0x0
	.size	__hip_cuid_bc12da9796ff365f, 1

	.ident	"AMD clang version 19.0.0git (https://github.com/RadeonOpenCompute/llvm-project roc-6.4.0 25133 c7fe45cf4b819c5991fe208aaa96edf142730f1d)"
	.section	".note.GNU-stack","",@progbits
	.addrsig
	.addrsig_sym __hip_cuid_bc12da9796ff365f
	.amdgpu_metadata
---
amdhsa.kernels:
  - .agpr_count:     0
    .args:           []
    .group_segment_fixed_size: 0
    .kernarg_segment_align: 4
    .kernarg_segment_size: 0
    .language:       OpenCL C
    .language_version:
      - 2
      - 0
    .max_flat_workgroup_size: 1024
    .name:           _ZN2ckL12flush_icacheEv
    .private_segment_fixed_size: 0
    .sgpr_count:     4
    .sgpr_spill_count: 0
    .symbol:         _ZN2ckL12flush_icacheEv.kd
    .uniform_work_group_size: 1
    .uses_dynamic_stack: false
    .vgpr_count:     0
    .vgpr_spill_count: 0
    .wavefront_size: 64
  - .agpr_count:     36
    .args:
      - .offset:         0
        .size:           112
        .value_kind:     by_value
    .group_segment_fixed_size: 24576
    .kernarg_segment_align: 8
    .kernarg_segment_size: 112
    .language:       OpenCL C
    .language_version:
      - 2
      - 0
    .max_flat_workgroup_size: 64
    .name:           _ZN2ck27kernel_gemm_xdl_cshuffle_v3INS_28GridwiseGemm_xdl_cshuffle_v3INS_13tensor_layout4gemm8RowMajorENS3_11ColumnMajorES4_DF16_NS_9f8_fnuz_tEfDF16_DF16_NS_16tensor_operation12element_wise11PassThroughES9_S9_LNS7_6device18GemmSpecializationE0ELi64ELi32ELi32ELi256ELi8ELi16ELi16ELi16ELi2ELi2ENS_8SequenceIJLi32ELi2ELi1EEEENSC_IJLi1ELi0ELi2EEEESE_Li2ELi8ELi8ELb0ELi0ENSC_IJLi16ELi4ELi1EEEESE_SE_Li2ELi16ELi16ELb0ELi0ELi1ELi1ENSC_IJLi1ELi16ELi1ELi4EEEELi4ELNS_26BlockGemmPipelineSchedulerE1ELNS_24BlockGemmPipelineVersionE0EDF16_DF16_Lb0ELb0ELb0ELi0ELb0EEELb1ELNS_25InMemoryDataOperationEnumE1ELi2ELNS_10TailNumberE10EEEvNT_8ArgumentE
    .private_segment_fixed_size: 2224
    .sgpr_count:     54
    .sgpr_spill_count: 0
    .symbol:         _ZN2ck27kernel_gemm_xdl_cshuffle_v3INS_28GridwiseGemm_xdl_cshuffle_v3INS_13tensor_layout4gemm8RowMajorENS3_11ColumnMajorES4_DF16_NS_9f8_fnuz_tEfDF16_DF16_NS_16tensor_operation12element_wise11PassThroughES9_S9_LNS7_6device18GemmSpecializationE0ELi64ELi32ELi32ELi256ELi8ELi16ELi16ELi16ELi2ELi2ENS_8SequenceIJLi32ELi2ELi1EEEENSC_IJLi1ELi0ELi2EEEESE_Li2ELi8ELi8ELb0ELi0ENSC_IJLi16ELi4ELi1EEEESE_SE_Li2ELi16ELi16ELb0ELi0ELi1ELi1ENSC_IJLi1ELi16ELi1ELi4EEEELi4ELNS_26BlockGemmPipelineSchedulerE1ELNS_24BlockGemmPipelineVersionE0EDF16_DF16_Lb0ELb0ELb0ELi0ELb0EEELb1ELNS_25InMemoryDataOperationEnumE1ELi2ELNS_10TailNumberE10EEEvNT_8ArgumentE.kd
    .uniform_work_group_size: 1
    .uses_dynamic_stack: false
    .vgpr_count:     168
    .vgpr_spill_count: 0
    .wavefront_size: 64
  - .agpr_count:     36
    .args:
      - .offset:         0
        .size:           112
        .value_kind:     by_value
    .group_segment_fixed_size: 24576
    .kernarg_segment_align: 8
    .kernarg_segment_size: 112
    .language:       OpenCL C
    .language_version:
      - 2
      - 0
    .max_flat_workgroup_size: 64
    .name:           _ZN2ck27kernel_gemm_xdl_cshuffle_v3INS_28GridwiseGemm_xdl_cshuffle_v3INS_13tensor_layout4gemm8RowMajorENS3_11ColumnMajorES4_DF16_NS_9f8_fnuz_tEfDF16_DF16_NS_16tensor_operation12element_wise11PassThroughES9_S9_LNS7_6device18GemmSpecializationE0ELi64ELi32ELi32ELi256ELi8ELi16ELi16ELi16ELi2ELi2ENS_8SequenceIJLi32ELi2ELi1EEEENSC_IJLi1ELi0ELi2EEEESE_Li2ELi8ELi8ELb0ELi0ENSC_IJLi16ELi4ELi1EEEESE_SE_Li2ELi16ELi16ELb0ELi0ELi1ELi1ENSC_IJLi1ELi16ELi1ELi4EEEELi4ELNS_26BlockGemmPipelineSchedulerE1ELNS_24BlockGemmPipelineVersionE0EDF16_DF16_Lb0ELb0ELb0ELi0ELb0EEELb1ELNS_25InMemoryDataOperationEnumE0ELi2ELNS_10TailNumberE10EEEvNT_8ArgumentE
    .private_segment_fixed_size: 2224
    .sgpr_count:     54
    .sgpr_spill_count: 0
    .symbol:         _ZN2ck27kernel_gemm_xdl_cshuffle_v3INS_28GridwiseGemm_xdl_cshuffle_v3INS_13tensor_layout4gemm8RowMajorENS3_11ColumnMajorES4_DF16_NS_9f8_fnuz_tEfDF16_DF16_NS_16tensor_operation12element_wise11PassThroughES9_S9_LNS7_6device18GemmSpecializationE0ELi64ELi32ELi32ELi256ELi8ELi16ELi16ELi16ELi2ELi2ENS_8SequenceIJLi32ELi2ELi1EEEENSC_IJLi1ELi0ELi2EEEESE_Li2ELi8ELi8ELb0ELi0ENSC_IJLi16ELi4ELi1EEEESE_SE_Li2ELi16ELi16ELb0ELi0ELi1ELi1ENSC_IJLi1ELi16ELi1ELi4EEEELi4ELNS_26BlockGemmPipelineSchedulerE1ELNS_24BlockGemmPipelineVersionE0EDF16_DF16_Lb0ELb0ELb0ELi0ELb0EEELb1ELNS_25InMemoryDataOperationEnumE0ELi2ELNS_10TailNumberE10EEEvNT_8ArgumentE.kd
    .uniform_work_group_size: 1
    .uses_dynamic_stack: false
    .vgpr_count:     168
    .vgpr_spill_count: 0
    .wavefront_size: 64
  - .agpr_count:     0
    .args:
      - .offset:         0
        .size:           112
        .value_kind:     by_value
    .group_segment_fixed_size: 24576
    .kernarg_segment_align: 8
    .kernarg_segment_size: 112
    .language:       OpenCL C
    .language_version:
      - 2
      - 0
    .max_flat_workgroup_size: 64
    .name:           _ZN2ck27kernel_gemm_xdl_cshuffle_v3INS_28GridwiseGemm_xdl_cshuffle_v3INS_13tensor_layout4gemm8RowMajorENS3_11ColumnMajorES4_DF16_NS_9f8_fnuz_tEfDF16_DF16_NS_16tensor_operation12element_wise11PassThroughES9_S9_LNS7_6device18GemmSpecializationE0ELi64ELi32ELi32ELi256ELi8ELi16ELi16ELi16ELi2ELi2ENS_8SequenceIJLi32ELi2ELi1EEEENSC_IJLi1ELi0ELi2EEEESE_Li2ELi8ELi8ELb0ELi0ENSC_IJLi16ELi4ELi1EEEESE_SE_Li2ELi16ELi16ELb0ELi0ELi1ELi1ENSC_IJLi1ELi16ELi1ELi4EEEELi4ELNS_26BlockGemmPipelineSchedulerE1ELNS_24BlockGemmPipelineVersionE0EDF16_DF16_Lb0ELb0ELb0ELi0ELb0EEELb0ELNS_25InMemoryDataOperationEnumE1ELi2ELNS_10TailNumberE10EEEvNT_8ArgumentE
    .private_segment_fixed_size: 0
    .sgpr_count:     30
    .sgpr_spill_count: 0
    .symbol:         _ZN2ck27kernel_gemm_xdl_cshuffle_v3INS_28GridwiseGemm_xdl_cshuffle_v3INS_13tensor_layout4gemm8RowMajorENS3_11ColumnMajorES4_DF16_NS_9f8_fnuz_tEfDF16_DF16_NS_16tensor_operation12element_wise11PassThroughES9_S9_LNS7_6device18GemmSpecializationE0ELi64ELi32ELi32ELi256ELi8ELi16ELi16ELi16ELi2ELi2ENS_8SequenceIJLi32ELi2ELi1EEEENSC_IJLi1ELi0ELi2EEEESE_Li2ELi8ELi8ELb0ELi0ENSC_IJLi16ELi4ELi1EEEESE_SE_Li2ELi16ELi16ELb0ELi0ELi1ELi1ENSC_IJLi1ELi16ELi1ELi4EEEELi4ELNS_26BlockGemmPipelineSchedulerE1ELNS_24BlockGemmPipelineVersionE0EDF16_DF16_Lb0ELb0ELb0ELi0ELb0EEELb0ELNS_25InMemoryDataOperationEnumE1ELi2ELNS_10TailNumberE10EEEvNT_8ArgumentE.kd
    .uniform_work_group_size: 1
    .uses_dynamic_stack: false
    .vgpr_count:     201
    .vgpr_spill_count: 0
    .wavefront_size: 64
  - .agpr_count:     0
    .args:
      - .offset:         0
        .size:           112
        .value_kind:     by_value
    .group_segment_fixed_size: 24576
    .kernarg_segment_align: 8
    .kernarg_segment_size: 112
    .language:       OpenCL C
    .language_version:
      - 2
      - 0
    .max_flat_workgroup_size: 64
    .name:           _ZN2ck27kernel_gemm_xdl_cshuffle_v3INS_28GridwiseGemm_xdl_cshuffle_v3INS_13tensor_layout4gemm8RowMajorENS3_11ColumnMajorES4_DF16_NS_9f8_fnuz_tEfDF16_DF16_NS_16tensor_operation12element_wise11PassThroughES9_S9_LNS7_6device18GemmSpecializationE0ELi64ELi32ELi32ELi256ELi8ELi16ELi16ELi16ELi2ELi2ENS_8SequenceIJLi32ELi2ELi1EEEENSC_IJLi1ELi0ELi2EEEESE_Li2ELi8ELi8ELb0ELi0ENSC_IJLi16ELi4ELi1EEEESE_SE_Li2ELi16ELi16ELb0ELi0ELi1ELi1ENSC_IJLi1ELi16ELi1ELi4EEEELi4ELNS_26BlockGemmPipelineSchedulerE1ELNS_24BlockGemmPipelineVersionE0EDF16_DF16_Lb0ELb0ELb0ELi0ELb0EEELb0ELNS_25InMemoryDataOperationEnumE0ELi2ELNS_10TailNumberE10EEEvNT_8ArgumentE
    .private_segment_fixed_size: 0
    .sgpr_count:     30
    .sgpr_spill_count: 0
    .symbol:         _ZN2ck27kernel_gemm_xdl_cshuffle_v3INS_28GridwiseGemm_xdl_cshuffle_v3INS_13tensor_layout4gemm8RowMajorENS3_11ColumnMajorES4_DF16_NS_9f8_fnuz_tEfDF16_DF16_NS_16tensor_operation12element_wise11PassThroughES9_S9_LNS7_6device18GemmSpecializationE0ELi64ELi32ELi32ELi256ELi8ELi16ELi16ELi16ELi2ELi2ENS_8SequenceIJLi32ELi2ELi1EEEENSC_IJLi1ELi0ELi2EEEESE_Li2ELi8ELi8ELb0ELi0ENSC_IJLi16ELi4ELi1EEEESE_SE_Li2ELi16ELi16ELb0ELi0ELi1ELi1ENSC_IJLi1ELi16ELi1ELi4EEEELi4ELNS_26BlockGemmPipelineSchedulerE1ELNS_24BlockGemmPipelineVersionE0EDF16_DF16_Lb0ELb0ELb0ELi0ELb0EEELb0ELNS_25InMemoryDataOperationEnumE0ELi2ELNS_10TailNumberE10EEEvNT_8ArgumentE.kd
    .uniform_work_group_size: 1
    .uses_dynamic_stack: false
    .vgpr_count:     201
    .vgpr_spill_count: 0
    .wavefront_size: 64
  - .agpr_count:     0
    .args:
      - .offset:         0
        .size:           112
        .value_kind:     by_value
    .group_segment_fixed_size: 0
    .kernarg_segment_align: 8
    .kernarg_segment_size: 112
    .language:       OpenCL C
    .language_version:
      - 2
      - 0
    .max_flat_workgroup_size: 64
    .name:           _ZN2ck27kernel_gemm_xdl_cshuffle_v3INS_28GridwiseGemm_xdl_cshuffle_v3INS_13tensor_layout4gemm8RowMajorENS3_11ColumnMajorES4_DF16_NS_9f8_fnuz_tEfDF16_DF16_NS_16tensor_operation12element_wise11PassThroughES9_S9_LNS7_6device18GemmSpecializationE0ELi64ELi32ELi32ELi256ELi8ELi16ELi16ELi16ELi2ELi1ENS_8SequenceIJLi32ELi2ELi1EEEENSC_IJLi1ELi0ELi2EEEESE_Li2ELi8ELi8ELb0ELi0ENSC_IJLi16ELi4ELi1EEEESE_SE_Li2ELi16ELi16ELb0ELi0ELi1ELi1ENSC_IJLi1ELi16ELi1ELi4EEEELi4ELNS_26BlockGemmPipelineSchedulerE1ELNS_24BlockGemmPipelineVersionE0EDF16_DF16_Lb0ELb0ELb0ELi0ELb0EEELb1ELNS_25InMemoryDataOperationEnumE1ELi2ELNS_10TailNumberE10EEEvNT_8ArgumentE
    .private_segment_fixed_size: 0
    .sgpr_count:     4
    .sgpr_spill_count: 0
    .symbol:         _ZN2ck27kernel_gemm_xdl_cshuffle_v3INS_28GridwiseGemm_xdl_cshuffle_v3INS_13tensor_layout4gemm8RowMajorENS3_11ColumnMajorES4_DF16_NS_9f8_fnuz_tEfDF16_DF16_NS_16tensor_operation12element_wise11PassThroughES9_S9_LNS7_6device18GemmSpecializationE0ELi64ELi32ELi32ELi256ELi8ELi16ELi16ELi16ELi2ELi1ENS_8SequenceIJLi32ELi2ELi1EEEENSC_IJLi1ELi0ELi2EEEESE_Li2ELi8ELi8ELb0ELi0ENSC_IJLi16ELi4ELi1EEEESE_SE_Li2ELi16ELi16ELb0ELi0ELi1ELi1ENSC_IJLi1ELi16ELi1ELi4EEEELi4ELNS_26BlockGemmPipelineSchedulerE1ELNS_24BlockGemmPipelineVersionE0EDF16_DF16_Lb0ELb0ELb0ELi0ELb0EEELb1ELNS_25InMemoryDataOperationEnumE1ELi2ELNS_10TailNumberE10EEEvNT_8ArgumentE.kd
    .uniform_work_group_size: 1
    .uses_dynamic_stack: false
    .vgpr_count:     0
    .vgpr_spill_count: 0
    .wavefront_size: 64
  - .agpr_count:     0
    .args:
      - .offset:         0
        .size:           112
        .value_kind:     by_value
    .group_segment_fixed_size: 0
    .kernarg_segment_align: 8
    .kernarg_segment_size: 112
    .language:       OpenCL C
    .language_version:
      - 2
      - 0
    .max_flat_workgroup_size: 64
    .name:           _ZN2ck27kernel_gemm_xdl_cshuffle_v3INS_28GridwiseGemm_xdl_cshuffle_v3INS_13tensor_layout4gemm8RowMajorENS3_11ColumnMajorES4_DF16_NS_9f8_fnuz_tEfDF16_DF16_NS_16tensor_operation12element_wise11PassThroughES9_S9_LNS7_6device18GemmSpecializationE0ELi64ELi32ELi32ELi256ELi8ELi16ELi16ELi16ELi2ELi1ENS_8SequenceIJLi32ELi2ELi1EEEENSC_IJLi1ELi0ELi2EEEESE_Li2ELi8ELi8ELb0ELi0ENSC_IJLi16ELi4ELi1EEEESE_SE_Li2ELi16ELi16ELb0ELi0ELi1ELi1ENSC_IJLi1ELi16ELi1ELi4EEEELi4ELNS_26BlockGemmPipelineSchedulerE1ELNS_24BlockGemmPipelineVersionE0EDF16_DF16_Lb0ELb0ELb0ELi0ELb0EEELb1ELNS_25InMemoryDataOperationEnumE0ELi2ELNS_10TailNumberE10EEEvNT_8ArgumentE
    .private_segment_fixed_size: 0
    .sgpr_count:     4
    .sgpr_spill_count: 0
    .symbol:         _ZN2ck27kernel_gemm_xdl_cshuffle_v3INS_28GridwiseGemm_xdl_cshuffle_v3INS_13tensor_layout4gemm8RowMajorENS3_11ColumnMajorES4_DF16_NS_9f8_fnuz_tEfDF16_DF16_NS_16tensor_operation12element_wise11PassThroughES9_S9_LNS7_6device18GemmSpecializationE0ELi64ELi32ELi32ELi256ELi8ELi16ELi16ELi16ELi2ELi1ENS_8SequenceIJLi32ELi2ELi1EEEENSC_IJLi1ELi0ELi2EEEESE_Li2ELi8ELi8ELb0ELi0ENSC_IJLi16ELi4ELi1EEEESE_SE_Li2ELi16ELi16ELb0ELi0ELi1ELi1ENSC_IJLi1ELi16ELi1ELi4EEEELi4ELNS_26BlockGemmPipelineSchedulerE1ELNS_24BlockGemmPipelineVersionE0EDF16_DF16_Lb0ELb0ELb0ELi0ELb0EEELb1ELNS_25InMemoryDataOperationEnumE0ELi2ELNS_10TailNumberE10EEEvNT_8ArgumentE.kd
    .uniform_work_group_size: 1
    .uses_dynamic_stack: false
    .vgpr_count:     0
    .vgpr_spill_count: 0
    .wavefront_size: 64
  - .agpr_count:     0
    .args:
      - .offset:         0
        .size:           112
        .value_kind:     by_value
    .group_segment_fixed_size: 0
    .kernarg_segment_align: 8
    .kernarg_segment_size: 112
    .language:       OpenCL C
    .language_version:
      - 2
      - 0
    .max_flat_workgroup_size: 64
    .name:           _ZN2ck27kernel_gemm_xdl_cshuffle_v3INS_28GridwiseGemm_xdl_cshuffle_v3INS_13tensor_layout4gemm8RowMajorENS3_11ColumnMajorES4_DF16_NS_9f8_fnuz_tEfDF16_DF16_NS_16tensor_operation12element_wise11PassThroughES9_S9_LNS7_6device18GemmSpecializationE0ELi64ELi32ELi32ELi256ELi8ELi16ELi16ELi16ELi2ELi1ENS_8SequenceIJLi32ELi2ELi1EEEENSC_IJLi1ELi0ELi2EEEESE_Li2ELi8ELi8ELb0ELi0ENSC_IJLi16ELi4ELi1EEEESE_SE_Li2ELi16ELi16ELb0ELi0ELi1ELi1ENSC_IJLi1ELi16ELi1ELi4EEEELi4ELNS_26BlockGemmPipelineSchedulerE1ELNS_24BlockGemmPipelineVersionE0EDF16_DF16_Lb0ELb0ELb0ELi0ELb0EEELb0ELNS_25InMemoryDataOperationEnumE1ELi2ELNS_10TailNumberE10EEEvNT_8ArgumentE
    .private_segment_fixed_size: 0
    .sgpr_count:     4
    .sgpr_spill_count: 0
    .symbol:         _ZN2ck27kernel_gemm_xdl_cshuffle_v3INS_28GridwiseGemm_xdl_cshuffle_v3INS_13tensor_layout4gemm8RowMajorENS3_11ColumnMajorES4_DF16_NS_9f8_fnuz_tEfDF16_DF16_NS_16tensor_operation12element_wise11PassThroughES9_S9_LNS7_6device18GemmSpecializationE0ELi64ELi32ELi32ELi256ELi8ELi16ELi16ELi16ELi2ELi1ENS_8SequenceIJLi32ELi2ELi1EEEENSC_IJLi1ELi0ELi2EEEESE_Li2ELi8ELi8ELb0ELi0ENSC_IJLi16ELi4ELi1EEEESE_SE_Li2ELi16ELi16ELb0ELi0ELi1ELi1ENSC_IJLi1ELi16ELi1ELi4EEEELi4ELNS_26BlockGemmPipelineSchedulerE1ELNS_24BlockGemmPipelineVersionE0EDF16_DF16_Lb0ELb0ELb0ELi0ELb0EEELb0ELNS_25InMemoryDataOperationEnumE1ELi2ELNS_10TailNumberE10EEEvNT_8ArgumentE.kd
    .uniform_work_group_size: 1
    .uses_dynamic_stack: false
    .vgpr_count:     0
    .vgpr_spill_count: 0
    .wavefront_size: 64
  - .agpr_count:     0
    .args:
      - .offset:         0
        .size:           112
        .value_kind:     by_value
    .group_segment_fixed_size: 0
    .kernarg_segment_align: 8
    .kernarg_segment_size: 112
    .language:       OpenCL C
    .language_version:
      - 2
      - 0
    .max_flat_workgroup_size: 64
    .name:           _ZN2ck27kernel_gemm_xdl_cshuffle_v3INS_28GridwiseGemm_xdl_cshuffle_v3INS_13tensor_layout4gemm8RowMajorENS3_11ColumnMajorES4_DF16_NS_9f8_fnuz_tEfDF16_DF16_NS_16tensor_operation12element_wise11PassThroughES9_S9_LNS7_6device18GemmSpecializationE0ELi64ELi32ELi32ELi256ELi8ELi16ELi16ELi16ELi2ELi1ENS_8SequenceIJLi32ELi2ELi1EEEENSC_IJLi1ELi0ELi2EEEESE_Li2ELi8ELi8ELb0ELi0ENSC_IJLi16ELi4ELi1EEEESE_SE_Li2ELi16ELi16ELb0ELi0ELi1ELi1ENSC_IJLi1ELi16ELi1ELi4EEEELi4ELNS_26BlockGemmPipelineSchedulerE1ELNS_24BlockGemmPipelineVersionE0EDF16_DF16_Lb0ELb0ELb0ELi0ELb0EEELb0ELNS_25InMemoryDataOperationEnumE0ELi2ELNS_10TailNumberE10EEEvNT_8ArgumentE
    .private_segment_fixed_size: 0
    .sgpr_count:     4
    .sgpr_spill_count: 0
    .symbol:         _ZN2ck27kernel_gemm_xdl_cshuffle_v3INS_28GridwiseGemm_xdl_cshuffle_v3INS_13tensor_layout4gemm8RowMajorENS3_11ColumnMajorES4_DF16_NS_9f8_fnuz_tEfDF16_DF16_NS_16tensor_operation12element_wise11PassThroughES9_S9_LNS7_6device18GemmSpecializationE0ELi64ELi32ELi32ELi256ELi8ELi16ELi16ELi16ELi2ELi1ENS_8SequenceIJLi32ELi2ELi1EEEENSC_IJLi1ELi0ELi2EEEESE_Li2ELi8ELi8ELb0ELi0ENSC_IJLi16ELi4ELi1EEEESE_SE_Li2ELi16ELi16ELb0ELi0ELi1ELi1ENSC_IJLi1ELi16ELi1ELi4EEEELi4ELNS_26BlockGemmPipelineSchedulerE1ELNS_24BlockGemmPipelineVersionE0EDF16_DF16_Lb0ELb0ELb0ELi0ELb0EEELb0ELNS_25InMemoryDataOperationEnumE0ELi2ELNS_10TailNumberE10EEEvNT_8ArgumentE.kd
    .uniform_work_group_size: 1
    .uses_dynamic_stack: false
    .vgpr_count:     0
    .vgpr_spill_count: 0
    .wavefront_size: 64
amdhsa.target:   amdgcn-amd-amdhsa--gfx90a
amdhsa.version:
  - 1
  - 2
...

	.end_amdgpu_metadata
